;; amdgpu-corpus repo=ROCm/rocFFT kind=compiled arch=gfx1030 opt=O3
	.text
	.amdgcn_target "amdgcn-amd-amdhsa--gfx1030"
	.amdhsa_code_object_version 6
	.protected	bluestein_single_fwd_len1920_dim1_dp_op_CI_CI ; -- Begin function bluestein_single_fwd_len1920_dim1_dp_op_CI_CI
	.globl	bluestein_single_fwd_len1920_dim1_dp_op_CI_CI
	.p2align	8
	.type	bluestein_single_fwd_len1920_dim1_dp_op_CI_CI,@function
bluestein_single_fwd_len1920_dim1_dp_op_CI_CI: ; @bluestein_single_fwd_len1920_dim1_dp_op_CI_CI
; %bb.0:
	s_load_dwordx4 s[8:11], s[4:5], 0x28
	v_mul_u32_u24_e32 v1, 0x223, v0
	s_mov_b64 s[26:27], s[2:3]
	s_mov_b64 s[24:25], s[0:1]
	v_mov_b32_e32 v12, 0
	s_add_u32 s24, s24, s7
	v_lshrrev_b32_e32 v4, 16, v1
	s_addc_u32 s25, s25, 0
	s_mov_b32 s0, exec_lo
	v_lshl_add_u32 v11, s6, 1, v4
	s_waitcnt lgkmcnt(0)
	v_cmpx_gt_u64_e64 s[8:9], v[11:12]
	s_cbranch_execz .LBB0_23
; %bb.1:
	s_clause 0x1
	s_load_dwordx4 s[0:3], s[4:5], 0x18
	s_load_dwordx2 s[16:17], s[4:5], 0x0
	v_mul_lo_u16 v1, 0x78, v4
	v_mov_b32_e32 v12, v11
	v_and_b32_e32 v4, 1, v4
	v_sub_nc_u16 v2, v0, v1
	v_and_b32_e32 v176, 0xffff, v2
	v_lshlrev_b32_e32 v3, 4, v176
	v_or_b32_e32 v30, 0x300, v176
	v_or_b32_e32 v15, 0x180, v176
	s_waitcnt lgkmcnt(0)
	s_load_dwordx4 s[12:15], s[0:1], 0x0
	v_or_b32_e32 v35, 0x480, v176
	v_add_co_u32 v16, s0, s16, v3
	v_add_co_ci_u32_e64 v17, null, s17, 0, s0
	global_load_dwordx4 v[102:105], v3, s[16:17]
	v_add_co_u32 v0, vcc_lo, 0x800, v16
	v_add_co_ci_u32_e32 v1, vcc_lo, 0, v17, vcc_lo
	v_add_co_u32 v13, vcc_lo, 0x2000, v16
	v_add_co_ci_u32_e32 v14, vcc_lo, 0, v17, vcc_lo
	global_load_dwordx4 v[106:109], v[0:1], off offset:1024
	buffer_store_dword v12, off, s[24:27], 0 offset:12 ; 4-byte Folded Spill
	buffer_store_dword v13, off, s[24:27], 0 offset:16 ; 4-byte Folded Spill
	v_lshlrev_b32_e32 v31, 4, v15
	buffer_store_dword v15, off, s[24:27], 0 offset:24 ; 4-byte Folded Spill
	v_or_b32_e32 v36, 0x600, v176
	s_waitcnt lgkmcnt(0)
	v_mad_u64_u32 v[0:1], null, s14, v11, 0
	v_mad_u64_u32 v[9:10], null, s12, v30, 0
	;; [unrolled: 1-line block ×5, first 2 shown]
	v_mov_b32_e32 v1, v10
	s_mul_i32 s1, s13, 0xc0
	s_mul_hi_u32 s6, s12, 0xc0
	v_mad_u64_u32 v[22:23], null, s12, v35, 0
	v_mad_u64_u32 v[18:19], null, s13, v176, v[6:7]
	;; [unrolled: 1-line block ×4, first 2 shown]
	v_mov_b32_e32 v1, v11
	s_mul_i32 s0, s12, 0xc0
	v_mov_b32_e32 v6, v18
	s_add_i32 s1, s6, s1
	v_mov_b32_e32 v8, v19
	v_lshlrev_b64 v[0:1], 4, v[0:1]
	s_lshl_b64 s[14:15], s[0:1], 4
	v_lshlrev_b64 v[5:6], 4, v[5:6]
	v_mov_b32_e32 v10, v20
	v_mov_b32_e32 v15, v23
	s_mul_i32 s7, s13, 0x1800
	v_add_co_u32 v27, vcc_lo, s10, v0
	v_add_co_ci_u32_e32 v34, vcc_lo, s11, v1, vcc_lo
	v_lshlrev_b64 v[0:1], 4, v[7:8]
	v_add_co_u32 v11, vcc_lo, v27, v5
	v_add_co_ci_u32_e32 v12, vcc_lo, v34, v6, vcc_lo
	s_mul_hi_u32 s8, s12, 0x1800
	v_add_co_u32 v0, vcc_lo, v27, v0
	v_add_co_ci_u32_e32 v1, vcc_lo, v34, v1, vcc_lo
	v_add_co_u32 v24, vcc_lo, v11, s14
	v_add_co_ci_u32_e32 v25, vcc_lo, s15, v12, vcc_lo
	s_mul_i32 s9, s12, 0x1800
	s_add_i32 s8, s8, s7
	v_lshlrev_b64 v[28:29], 4, v[9:10]
	s_clause 0x2
	global_load_dwordx4 v[5:8], v[0:1], off
	global_load_dwordx4 v[9:12], v[11:12], off
	;; [unrolled: 1-line block ×3, first 2 shown]
	v_add_co_u32 v0, vcc_lo, v24, s9
	v_add_co_ci_u32_e32 v1, vcc_lo, s8, v25, vcc_lo
	v_mad_u64_u32 v[25:26], null, s13, v35, v[15:16]
	v_add_co_u32 v23, vcc_lo, v27, v28
	v_add_co_ci_u32_e32 v24, vcc_lo, v34, v29, vcc_lo
	v_mad_u64_u32 v[32:33], null, s12, v36, 0
	buffer_store_dword v30, off, s[24:27], 0 offset:28 ; 4-byte Folded Spill
	buffer_store_dword v31, off, s[24:27], 0 offset:244 ; 4-byte Folded Spill
	v_lshlrev_b32_e32 v15, 4, v30
	global_load_dwordx4 v[126:129], v31, s[16:17]
	global_load_dwordx4 v[28:31], v[0:1], off
	global_load_dwordx4 v[122:125], v[13:14], off offset:1024
	global_load_dwordx4 v[40:43], v[23:24], off
	v_mov_b32_e32 v23, v25
	buffer_store_dword v15, off, s[24:27], 0 offset:248 ; 4-byte Folded Spill
	global_load_dwordx4 v[94:97], v15, s[16:17]
	v_mov_b32_e32 v13, v33
	v_add_co_u32 v0, vcc_lo, v0, s9
	v_lshlrev_b64 v[14:15], 4, v[22:23]
	v_add_co_ci_u32_e32 v1, vcc_lo, s8, v1, vcc_lo
	buffer_store_dword v35, off, s[24:27], 0 offset:20 ; 4-byte Folded Spill
	v_mad_u64_u32 v[22:23], null, s13, v36, v[13:14]
	v_add_co_u32 v23, vcc_lo, 0x3800, v16
	v_add_co_ci_u32_e32 v24, vcc_lo, 0, v17, vcc_lo
	v_add_co_u32 v13, vcc_lo, v27, v14
	v_mov_b32_e32 v33, v22
	v_add_co_ci_u32_e32 v14, vcc_lo, v34, v15, vcc_lo
	global_load_dwordx4 v[44:47], v[0:1], off
	global_load_dwordx4 v[98:101], v[23:24], off offset:1024
	global_load_dwordx4 v[48:51], v[13:14], off
	v_lshlrev_b64 v[13:14], 4, v[32:33]
	v_add_co_u32 v22, vcc_lo, v0, s9
	v_add_co_ci_u32_e32 v23, vcc_lo, s8, v1, vcc_lo
	v_lshlrev_b32_e32 v15, 4, v35
	v_add_co_u32 v0, vcc_lo, v27, v13
	v_add_co_ci_u32_e32 v1, vcc_lo, v34, v14, vcc_lo
	v_add_co_u32 v13, vcc_lo, 0x5000, v16
	v_add_co_ci_u32_e32 v14, vcc_lo, 0, v17, vcc_lo
	buffer_store_dword v15, off, s[24:27], 0 offset:240 ; 4-byte Folded Spill
	global_load_dwordx4 v[90:93], v15, s[16:17]
	v_lshlrev_b32_e32 v15, 4, v36
	v_add_co_u32 v24, vcc_lo, 0x6800, v16
	v_add_co_ci_u32_e32 v25, vcc_lo, 0, v17, vcc_lo
	global_load_dwordx4 v[52:55], v[0:1], off
	v_add_co_u32 v0, vcc_lo, v22, s9
	buffer_store_dword v36, off, s[24:27], 0 offset:32 ; 4-byte Folded Spill
	v_add_co_ci_u32_e32 v1, vcc_lo, s8, v23, vcc_lo
	buffer_store_dword v15, off, s[24:27], 0 offset:236 ; 4-byte Folded Spill
	global_load_dwordx4 v[110:113], v15, s[16:17]
	global_load_dwordx4 v[56:59], v[22:23], off
	s_clause 0x1
	global_load_dwordx4 v[118:121], v[13:14], off offset:1024
	global_load_dwordx4 v[114:117], v[24:25], off offset:1024
	global_load_dwordx4 v[60:63], v[0:1], off
	v_cmp_eq_u32_e32 vcc_lo, 1, v4
	s_waitcnt vmcnt(16)
	v_mul_f64 v[13:14], v[11:12], v[104:105]
	s_waitcnt vmcnt(15)
	v_mul_f64 v[36:37], v[20:21], v[108:109]
	v_mul_f64 v[22:23], v[9:10], v[104:105]
	;; [unrolled: 1-line block ×3, first 2 shown]
	v_cndmask_b32_e64 v177, 0, 0x780, vcc_lo
	v_cmp_gt_u16_e32 vcc_lo, 0x48, v2
	v_or_b32_e32 v15, v177, v176
	v_lshl_add_u32 v26, v177, 4, v3
	v_fma_f64 v[9:10], v[9:10], v[102:103], v[13:14]
	buffer_store_dword v102, off, s[24:27], 0 offset:84 ; 4-byte Folded Spill
	buffer_store_dword v103, off, s[24:27], 0 offset:88 ; 4-byte Folded Spill
	;; [unrolled: 1-line block ×4, first 2 shown]
	v_fma_f64 v[18:19], v[18:19], v[106:107], v[36:37]
	s_waitcnt vmcnt(14)
	v_mul_f64 v[24:25], v[7:8], v[128:129]
	v_mul_f64 v[32:33], v[5:6], v[128:129]
	s_waitcnt vmcnt(12)
	v_mul_f64 v[66:67], v[30:31], v[124:125]
	v_mul_f64 v[68:69], v[28:29], v[124:125]
	;; [unrolled: 3-line block ×3, first 2 shown]
	v_fma_f64 v[4:5], v[5:6], v[126:127], v[24:25]
	buffer_store_dword v126, off, s[24:27], 0 offset:180 ; 4-byte Folded Spill
	buffer_store_dword v127, off, s[24:27], 0 offset:184 ; 4-byte Folded Spill
	;; [unrolled: 1-line block ×8, first 2 shown]
	v_fma_f64 v[28:29], v[28:29], v[122:123], v[66:67]
	s_waitcnt vmcnt(8)
	v_mul_f64 v[72:73], v[46:47], v[100:101]
	v_mul_f64 v[74:75], v[44:45], v[100:101]
	v_fma_f64 v[40:41], v[40:41], v[94:95], v[34:35]
	buffer_store_dword v94, off, s[24:27], 0 offset:52 ; 4-byte Folded Spill
	buffer_store_dword v95, off, s[24:27], 0 offset:56 ; 4-byte Folded Spill
	;; [unrolled: 1-line block ×8, first 2 shown]
	s_waitcnt vmcnt(6)
	v_mul_f64 v[70:71], v[50:51], v[92:93]
	v_mul_f64 v[76:77], v[48:49], v[92:93]
	v_fma_f64 v[44:45], v[44:45], v[98:99], v[72:73]
	buffer_store_dword v98, off, s[24:27], 0 offset:68 ; 4-byte Folded Spill
	buffer_store_dword v99, off, s[24:27], 0 offset:72 ; 4-byte Folded Spill
	;; [unrolled: 1-line block ×4, first 2 shown]
	s_waitcnt vmcnt(4)
	v_mul_f64 v[78:79], v[54:55], v[112:113]
	v_mul_f64 v[80:81], v[52:53], v[112:113]
	s_waitcnt vmcnt(2)
	v_mul_f64 v[82:83], v[58:59], v[120:121]
	v_mul_f64 v[84:85], v[56:57], v[120:121]
	s_waitcnt vmcnt(0)
	v_mul_f64 v[86:87], v[62:63], v[116:117]
	v_mul_f64 v[88:89], v[60:61], v[116:117]
	v_fma_f64 v[48:49], v[48:49], v[90:91], v[70:71]
	buffer_store_dword v90, off, s[24:27], 0 offset:36 ; 4-byte Folded Spill
	buffer_store_dword v91, off, s[24:27], 0 offset:40 ; 4-byte Folded Spill
	buffer_store_dword v92, off, s[24:27], 0 offset:44 ; 4-byte Folded Spill
	buffer_store_dword v93, off, s[24:27], 0 offset:48 ; 4-byte Folded Spill
	v_fma_f64 v[52:53], v[52:53], v[110:111], v[78:79]
	buffer_store_dword v110, off, s[24:27], 0 offset:116 ; 4-byte Folded Spill
	buffer_store_dword v111, off, s[24:27], 0 offset:120 ; 4-byte Folded Spill
	buffer_store_dword v112, off, s[24:27], 0 offset:124 ; 4-byte Folded Spill
	buffer_store_dword v113, off, s[24:27], 0 offset:128 ; 4-byte Folded Spill
	;; [unrolled: 5-line block ×4, first 2 shown]
	v_fma_f64 v[11:12], v[11:12], v[102:103], -v[22:23]
	s_load_dwordx2 s[6:7], s[4:5], 0x38
	s_load_dwordx4 s[8:11], s[2:3], 0x0
	v_fma_f64 v[6:7], v[7:8], v[126:127], -v[32:33]
	v_fma_f64 v[20:21], v[20:21], v[106:107], -v[38:39]
	v_lshlrev_b32_e32 v8, 4, v15
	v_fma_f64 v[42:43], v[42:43], v[94:95], -v[64:65]
	v_fma_f64 v[30:31], v[30:31], v[122:123], -v[68:69]
	buffer_store_dword v8, off, s[24:27], 0 ; 4-byte Folded Spill
	v_fma_f64 v[46:47], v[46:47], v[98:99], -v[74:75]
	ds_write_b128 v8, v[9:12]
	ds_write_b128 v26, v[18:21] offset:3072
	ds_write_b128 v26, v[4:7] offset:6144
	;; [unrolled: 1-line block ×5, first 2 shown]
	v_fma_f64 v[50:51], v[50:51], v[90:91], -v[76:77]
	v_fma_f64 v[54:55], v[54:55], v[110:111], -v[80:81]
	;; [unrolled: 1-line block ×4, first 2 shown]
	ds_write_b128 v26, v[48:51] offset:18432
	ds_write_b128 v26, v[56:59] offset:21504
	;; [unrolled: 1-line block ×4, first 2 shown]
	s_and_saveexec_b32 s1, vcc_lo
	s_cbranch_execz .LBB0_3
; %bb.2:
	v_mad_u64_u32 v[8:9], null, 0xffff9b80, s12, v[0:1]
	s_mul_i32 s0, s13, 0xffff9b80
	s_sub_i32 s0, s0, s12
	v_add_nc_u32_e32 v9, s0, v9
	v_add_co_u32 v12, s0, v8, s14
	v_add_co_ci_u32_e64 v13, s0, s15, v9, s0
	v_add_co_u32 v4, s0, 0x1000, v16
	v_add_co_ci_u32_e64 v5, s0, 0, v17, s0
	;; [unrolled: 2-line block ×4, first 2 shown]
	s_clause 0x1
	global_load_dwordx4 v[0:3], v[16:17], off offset:1920
	global_load_dwordx4 v[4:7], v[4:5], off offset:896
	global_load_dwordx4 v[8:11], v[8:9], off
	global_load_dwordx4 v[12:15], v[12:13], off
	global_load_dwordx4 v[18:21], v[22:23], off
	v_add_co_u32 v22, s0, v22, s14
	v_add_co_ci_u32_e64 v23, s0, s15, v23, s0
	v_add_co_u32 v32, s0, 0x2800, v16
	v_add_co_ci_u32_e64 v33, s0, 0, v17, s0
	v_add_co_u32 v34, s0, v22, s14
	v_add_co_ci_u32_e64 v35, s0, s15, v23, s0
	v_add_co_u32 v36, s0, 0x3000, v16
	v_add_co_ci_u32_e64 v37, s0, 0, v17, s0
	global_load_dwordx4 v[28:31], v[24:25], off offset:1920
	global_load_dwordx4 v[40:43], v[22:23], off
	global_load_dwordx4 v[44:47], v[32:33], off offset:896
	global_load_dwordx4 v[48:51], v[34:35], off
	global_load_dwordx4 v[52:55], v[36:37], off offset:1920
	v_add_co_u32 v22, s0, v34, s14
	v_add_co_ci_u32_e64 v23, s0, s15, v35, s0
	v_add_co_u32 v24, s0, 0x4000, v16
	v_add_co_ci_u32_e64 v25, s0, 0, v17, s0
	;; [unrolled: 2-line block ×5, first 2 shown]
	global_load_dwordx4 v[56:59], v[22:23], off
	global_load_dwordx4 v[60:63], v[24:25], off offset:896
	global_load_dwordx4 v[64:67], v[32:33], off
	global_load_dwordx4 v[68:71], v[34:35], off offset:1920
	global_load_dwordx4 v[72:75], v[36:37], off
	v_add_co_u32 v22, s0, 0x5800, v16
	v_add_co_ci_u32_e64 v23, s0, 0, v17, s0
	v_add_co_u32 v24, s0, v36, s14
	v_add_co_ci_u32_e64 v25, s0, s15, v37, s0
	;; [unrolled: 2-line block ×5, first 2 shown]
	global_load_dwordx4 v[76:79], v[22:23], off offset:896
	global_load_dwordx4 v[80:83], v[24:25], off
	s_clause 0x1
	global_load_dwordx4 v[84:87], v[32:33], off offset:1920
	global_load_dwordx4 v[88:91], v[34:35], off offset:896
	global_load_dwordx4 v[92:95], v[36:37], off
	s_waitcnt vmcnt(17)
	v_mul_f64 v[22:23], v[10:11], v[2:3]
	v_mul_f64 v[2:3], v[8:9], v[2:3]
	s_waitcnt vmcnt(16)
	v_mul_f64 v[24:25], v[14:15], v[6:7]
	v_mul_f64 v[32:33], v[12:13], v[6:7]
	s_waitcnt vmcnt(14)
	v_mul_f64 v[34:35], v[20:21], v[30:31]
	v_mul_f64 v[30:31], v[18:19], v[30:31]
	s_waitcnt vmcnt(12)
	v_mul_f64 v[36:37], v[42:43], v[46:47]
	v_mul_f64 v[38:39], v[40:41], v[46:47]
	s_waitcnt vmcnt(10)
	v_mul_f64 v[46:47], v[50:51], v[54:55]
	v_mul_f64 v[54:55], v[48:49], v[54:55]
	v_fma_f64 v[6:7], v[8:9], v[0:1], v[22:23]
	v_fma_f64 v[8:9], v[10:11], v[0:1], -v[2:3]
	v_fma_f64 v[0:1], v[12:13], v[4:5], v[24:25]
	v_fma_f64 v[2:3], v[14:15], v[4:5], -v[32:33]
	s_waitcnt vmcnt(8)
	v_mul_f64 v[96:97], v[58:59], v[62:63]
	v_mul_f64 v[62:63], v[56:57], v[62:63]
	s_waitcnt vmcnt(6)
	v_mul_f64 v[98:99], v[66:67], v[70:71]
	v_mul_f64 v[70:71], v[64:65], v[70:71]
	v_fma_f64 v[10:11], v[18:19], v[28:29], v[34:35]
	v_fma_f64 v[12:13], v[20:21], v[28:29], -v[30:31]
	v_fma_f64 v[18:19], v[40:41], v[44:45], v[36:37]
	v_fma_f64 v[20:21], v[42:43], v[44:45], -v[38:39]
	;; [unrolled: 2-line block ×3, first 2 shown]
	s_waitcnt vmcnt(4)
	v_mul_f64 v[100:101], v[74:75], v[78:79]
	v_mul_f64 v[78:79], v[72:73], v[78:79]
	s_waitcnt vmcnt(2)
	v_mul_f64 v[102:103], v[82:83], v[86:87]
	v_mul_f64 v[86:87], v[80:81], v[86:87]
	;; [unrolled: 3-line block ×3, first 2 shown]
	v_fma_f64 v[40:41], v[56:57], v[60:61], v[96:97]
	v_fma_f64 v[42:43], v[58:59], v[60:61], -v[62:63]
	v_fma_f64 v[44:45], v[64:65], v[68:69], v[98:99]
	v_fma_f64 v[46:47], v[66:67], v[68:69], -v[70:71]
	;; [unrolled: 2-line block ×5, first 2 shown]
	ds_write_b128 v26, v[6:9] offset:1920
	ds_write_b128 v26, v[0:3] offset:4992
	ds_write_b128 v26, v[10:13] offset:8064
	ds_write_b128 v26, v[18:21] offset:11136
	ds_write_b128 v26, v[28:31] offset:14208
	ds_write_b128 v26, v[40:43] offset:17280
	ds_write_b128 v26, v[44:47] offset:20352
	ds_write_b128 v26, v[48:51] offset:23424
	ds_write_b128 v26, v[52:55] offset:26496
	ds_write_b128 v26, v[56:59] offset:29568
.LBB0_3:
	s_or_b32 exec_lo, exec_lo, s1
	s_waitcnt lgkmcnt(0)
	s_waitcnt_vscnt null, 0x0
	s_barrier
	buffer_gl0_inv
	buffer_load_dword v0, off, s[24:27], 0  ; 4-byte Folded Reload
                                        ; implicit-def: $vgpr68_vgpr69
                                        ; implicit-def: $vgpr40_vgpr41
                                        ; implicit-def: $vgpr52_vgpr53
                                        ; implicit-def: $vgpr44_vgpr45
                                        ; implicit-def: $vgpr60_vgpr61
                                        ; implicit-def: $vgpr72_vgpr73
                                        ; implicit-def: $vgpr76_vgpr77
                                        ; implicit-def: $vgpr64_vgpr65
                                        ; implicit-def: $vgpr56_vgpr57
                                        ; implicit-def: $vgpr48_vgpr49
	s_waitcnt vmcnt(0)
	ds_read_b128 v[88:91], v0
	ds_read_b128 v[92:95], v26 offset:3072
	ds_read_b128 v[100:103], v26 offset:6144
	;; [unrolled: 1-line block ×9, first 2 shown]
	s_and_saveexec_b32 s0, vcc_lo
	s_cbranch_execz .LBB0_5
; %bb.4:
	ds_read_b128 v[48:51], v26 offset:1920
	ds_read_b128 v[56:59], v26 offset:4992
	ds_read_b128 v[64:67], v26 offset:8064
	ds_read_b128 v[76:79], v26 offset:11136
	ds_read_b128 v[72:75], v26 offset:14208
	ds_read_b128 v[68:71], v26 offset:17280
	ds_read_b128 v[40:43], v26 offset:20352
	ds_read_b128 v[52:55], v26 offset:23424
	ds_read_b128 v[44:47], v26 offset:26496
	ds_read_b128 v[60:63], v26 offset:29568
.LBB0_5:
	s_or_b32 exec_lo, exec_lo, s0
	s_waitcnt lgkmcnt(0)
	v_add_f64 v[20:21], v[98:99], v[2:3]
	v_add_f64 v[18:19], v[80:81], v[8:9]
	;; [unrolled: 1-line block ×3, first 2 shown]
	v_add_f64 v[108:109], v[80:81], -v[8:9]
	s_mov_b32 s2, 0x134454ff
	s_mov_b32 s3, 0x3fee6f0e
	v_add_f64 v[28:29], v[84:85], v[12:13]
	v_add_f64 v[38:39], v[98:99], -v[2:3]
	v_add_f64 v[104:105], v[82:83], v[10:11]
	v_add_f64 v[106:107], v[82:83], -v[10:11]
	v_add_f64 v[110:111], v[100:101], v[4:5]
	v_add_f64 v[118:119], v[86:87], v[14:15]
	;; [unrolled: 1-line block ×3, first 2 shown]
	v_add_f64 v[126:127], v[96:97], -v[80:81]
	v_add_f64 v[128:129], v[0:1], -v[8:9]
	;; [unrolled: 1-line block ×7, first 2 shown]
	s_mov_b32 s12, 0x4755a5e
	s_mov_b32 s13, 0x3fe2cf23
	v_fma_f64 v[20:21], v[20:21], -0.5, v[94:95]
	v_fma_f64 v[18:19], v[18:19], -0.5, v[92:93]
	;; [unrolled: 1-line block ×3, first 2 shown]
	s_mov_b32 s15, 0xbfee6f0e
	s_mov_b32 s19, 0xbfe2cf23
	;; [unrolled: 1-line block ×4, first 2 shown]
	v_add_f64 v[24:25], v[88:89], v[100:101]
	v_add_f64 v[30:31], v[102:103], -v[6:7]
	v_add_f64 v[34:35], v[100:101], -v[84:85]
	;; [unrolled: 1-line block ×3, first 2 shown]
	v_add_f64 v[116:117], v[90:91], v[102:103]
	v_fma_f64 v[104:105], v[104:105], -0.5, v[94:95]
	v_add_f64 v[92:93], v[92:93], v[96:97]
	v_add_f64 v[94:95], v[94:95], v[98:99]
	v_fma_f64 v[28:29], v[28:29], -0.5, v[88:89]
	v_fma_f64 v[88:89], v[110:111], -0.5, v[88:89]
	;; [unrolled: 1-line block ×4, first 2 shown]
	v_add_f64 v[118:119], v[126:127], v[128:129]
	v_add_f64 v[124:125], v[130:131], v[132:133]
	;; [unrolled: 1-line block ×3, first 2 shown]
	v_fma_f64 v[144:145], v[108:109], s[2:3], v[20:21]
	v_fma_f64 v[142:143], v[38:39], s[2:3], v[18:19]
	;; [unrolled: 1-line block ×5, first 2 shown]
	s_mov_b32 s0, 0x372fe950
	s_mov_b32 s1, 0x3fd3c6ef
	v_add_f64 v[32:33], v[86:87], -v[14:15]
	v_add_f64 v[112:113], v[84:85], -v[100:101]
	;; [unrolled: 1-line block ×9, first 2 shown]
	v_fma_f64 v[128:129], v[134:135], s[14:15], v[104:105]
	v_fma_f64 v[104:105], v[134:135], s[2:3], v[104:105]
	v_fma_f64 v[20:21], v[108:109], s[14:15], v[20:21]
	v_add_f64 v[24:25], v[24:25], v[84:85]
	v_add_f64 v[34:35], v[34:35], v[36:37]
	;; [unrolled: 1-line block ×3, first 2 shown]
	v_fma_f64 v[132:133], v[134:135], s[18:19], v[144:145]
	v_fma_f64 v[130:131], v[106:107], s[12:13], v[142:143]
	;; [unrolled: 1-line block ×5, first 2 shown]
	v_add_f64 v[80:81], v[92:93], v[80:81]
	v_add_f64 v[82:83], v[94:95], v[82:83]
	v_fma_f64 v[86:87], v[30:31], s[2:3], v[28:29]
	v_fma_f64 v[28:29], v[30:31], s[14:15], v[28:29]
	v_add_f64 v[140:141], v[6:7], -v[14:15]
	v_add_f64 v[148:149], v[14:15], -v[6:7]
	v_add_f64 v[38:39], v[112:113], v[114:115]
	v_fma_f64 v[92:93], v[32:33], s[14:15], v[88:89]
	v_fma_f64 v[88:89], v[32:33], s[2:3], v[88:89]
	;; [unrolled: 1-line block ×3, first 2 shown]
	v_add_f64 v[84:85], v[96:97], v[98:99]
	v_fma_f64 v[96:97], v[108:109], s[18:19], v[128:129]
	v_fma_f64 v[98:99], v[108:109], s[12:13], v[104:105]
	;; [unrolled: 1-line block ×4, first 2 shown]
	v_add_f64 v[12:13], v[24:25], v[12:13]
	v_add_f64 v[14:15], v[36:37], v[14:15]
	v_fma_f64 v[106:107], v[126:127], s[0:1], v[132:133]
	v_fma_f64 v[104:105], v[118:119], s[0:1], v[130:131]
	;; [unrolled: 1-line block ×7, first 2 shown]
	v_add_f64 v[8:9], v[80:81], v[8:9]
	v_add_f64 v[10:11], v[82:83], v[10:11]
	v_fma_f64 v[80:81], v[32:33], s[12:13], v[86:87]
	v_fma_f64 v[28:29], v[32:33], s[18:19], v[28:29]
	s_mov_b32 s20, 0x9b97f4a8
	s_mov_b32 s21, 0x3fe9e377
	v_add_f64 v[114:115], v[122:123], v[140:141]
	v_add_f64 v[102:103], v[102:103], v[148:149]
	v_fma_f64 v[32:33], v[30:31], s[12:13], v[92:93]
	v_fma_f64 v[30:31], v[30:31], s[18:19], v[88:89]
	;; [unrolled: 1-line block ×7, first 2 shown]
	v_mul_f64 v[90:91], v[106:107], s[2:3]
	v_mul_f64 v[88:89], v[104:105], s[20:21]
	;; [unrolled: 1-line block ×6, first 2 shown]
	v_add_f64 v[110:111], v[40:41], v[72:73]
	v_add_f64 v[112:113], v[68:69], v[52:53]
	;; [unrolled: 1-line block ×6, first 2 shown]
	v_fma_f64 v[12:13], v[120:121], s[12:13], v[24:25]
	v_fma_f64 v[14:15], v[100:101], s[12:13], v[36:37]
	v_add_f64 v[0:1], v[8:9], v[0:1]
	v_add_f64 v[2:3], v[10:11], v[2:3]
	v_fma_f64 v[8:9], v[34:35], s[0:1], v[80:81]
	v_fma_f64 v[10:11], v[34:35], s[0:1], v[28:29]
	;; [unrolled: 1-line block ×7, first 2 shown]
	v_add_f64 v[22:23], v[70:71], v[54:55]
	v_fma_f64 v[36:37], v[20:21], s[2:3], -v[92:93]
	v_fma_f64 v[38:39], v[84:85], s[12:13], -v[94:95]
	v_fma_f64 v[120:121], v[86:87], s[20:21], v[98:99]
	v_fma_f64 v[104:105], v[106:107], s[0:1], v[104:105]
	v_add_f64 v[94:95], v[64:65], v[48:49]
	v_add_f64 v[98:99], v[66:67], -v[46:47]
	v_fma_f64 v[106:107], v[110:111], -0.5, v[48:49]
	v_add_f64 v[110:111], v[78:79], -v[62:63]
	v_add_f64 v[122:123], v[70:71], -v[54:55]
	v_mul_f64 v[20:21], v[20:21], s[0:1]
	v_mul_f64 v[124:125], v[84:85], s[20:21]
	v_add_f64 v[126:127], v[68:69], -v[52:53]
	v_fma_f64 v[112:113], v[112:113], -0.5, v[56:57]
	v_fma_f64 v[116:117], v[116:117], -0.5, v[56:57]
	v_fma_f64 v[118:119], v[118:119], -0.5, v[58:59]
	v_fma_f64 v[114:115], v[114:115], s[0:1], v[12:13]
	v_fma_f64 v[102:103], v[102:103], s[0:1], v[14:15]
	v_add_f64 v[14:15], v[76:77], -v[60:61]
	v_add_f64 v[128:129], v[44:45], v[64:65]
	v_add_f64 v[130:131], v[74:75], -v[42:43]
	v_add_f64 v[132:133], v[76:77], -v[68:69]
	v_fma_f64 v[12:13], v[22:23], -0.5, v[58:59]
	v_add_f64 v[134:135], v[60:61], -v[52:53]
	v_add_f64 v[140:141], v[68:69], -v[76:77]
	;; [unrolled: 1-line block ×4, first 2 shown]
	v_add_f64 v[22:23], v[72:73], v[94:95]
	v_add_f64 v[148:149], v[54:55], -v[62:63]
	v_fma_f64 v[94:95], v[98:99], s[2:3], v[106:107]
	v_add_f64 v[150:151], v[78:79], -v[70:71]
	v_add_f64 v[152:153], v[62:63], -v[54:55]
	v_fma_f64 v[108:109], v[108:109], s[14:15], -v[20:21]
	v_fma_f64 v[124:125], v[18:19], s[18:19], -v[124:125]
	v_add_f64 v[18:19], v[42:43], v[74:75]
	v_add_f64 v[20:21], v[46:47], v[66:67]
	v_fma_f64 v[136:137], v[110:111], s[14:15], v[112:113]
	v_fma_f64 v[138:139], v[122:123], s[14:15], v[116:117]
	;; [unrolled: 1-line block ×6, first 2 shown]
	v_fma_f64 v[48:49], v[128:129], -0.5, v[48:49]
	v_add_f64 v[158:159], v[64:65], -v[44:45]
	v_fma_f64 v[154:155], v[14:15], s[2:3], v[12:13]
	v_fma_f64 v[12:13], v[14:15], s[14:15], v[12:13]
	v_add_f64 v[160:161], v[72:73], -v[40:41]
	v_add_f64 v[132:133], v[134:135], v[132:133]
	v_add_f64 v[56:57], v[76:77], v[56:57]
	;; [unrolled: 1-line block ×4, first 2 shown]
	v_fma_f64 v[128:129], v[130:131], s[12:13], v[94:95]
	v_add_f64 v[94:95], v[64:65], -v[72:73]
	v_add_f64 v[64:65], v[72:73], -v[64:65]
	;; [unrolled: 1-line block ×3, first 2 shown]
	v_fma_f64 v[106:107], v[98:99], s[14:15], v[106:107]
	v_fma_f64 v[18:19], v[18:19], -0.5, v[50:51]
	v_fma_f64 v[20:21], v[20:21], -0.5, v[50:51]
	v_fma_f64 v[134:135], v[122:123], s[18:19], v[136:137]
	v_add_f64 v[136:137], v[142:143], v[140:141]
	v_fma_f64 v[140:141], v[14:15], s[18:19], v[144:145]
	v_add_f64 v[142:143], v[148:149], v[146:147]
	v_fma_f64 v[116:117], v[110:111], s[18:19], v[116:117]
	v_fma_f64 v[110:111], v[110:111], s[12:13], v[138:139]
	v_add_f64 v[138:139], v[152:153], v[150:151]
	v_fma_f64 v[14:15], v[14:15], s[12:13], v[118:119]
	v_fma_f64 v[118:119], v[126:127], s[12:13], v[154:155]
	v_fma_f64 v[12:13], v[126:127], s[18:19], v[12:13]
	v_add_f64 v[50:51], v[66:67], v[50:51]
	v_fma_f64 v[72:73], v[122:123], s[12:13], v[112:113]
	v_fma_f64 v[76:77], v[130:131], s[14:15], v[48:49]
	v_add_f64 v[40:41], v[40:41], -v[44:45]
	v_fma_f64 v[48:49], v[130:131], s[2:3], v[48:49]
	v_add_f64 v[78:79], v[66:67], -v[74:75]
	v_add_f64 v[112:113], v[46:47], -v[42:43]
	;; [unrolled: 1-line block ×4, first 2 shown]
	v_fma_f64 v[106:107], v[130:131], s[18:19], v[106:107]
	v_fma_f64 v[122:123], v[158:159], s[2:3], v[18:19]
	;; [unrolled: 1-line block ×12, first 2 shown]
	v_add_f64 v[14:15], v[68:69], v[56:57]
	v_fma_f64 v[68:69], v[138:139], s[0:1], v[12:13]
	v_add_f64 v[12:13], v[74:75], v[50:51]
	v_add_f64 v[50:51], v[70:71], v[58:59]
	v_fma_f64 v[58:59], v[132:133], s[0:1], v[72:73]
	v_add_f64 v[56:57], v[156:157], v[94:95]
	v_fma_f64 v[70:71], v[98:99], s[12:13], v[76:77]
	;; [unrolled: 2-line block ×3, first 2 shown]
	v_add_f64 v[64:65], v[112:113], v[78:79]
	v_add_f64 v[66:67], v[144:145], v[66:67]
	v_fma_f64 v[72:73], v[160:161], s[12:13], v[122:123]
	v_fma_f64 v[74:75], v[158:159], s[18:19], v[126:127]
	v_fma_f64 v[20:21], v[158:159], s[12:13], v[20:21]
	v_mul_f64 v[112:113], v[134:135], s[20:21]
	v_fma_f64 v[138:139], v[160:161], s[18:19], v[18:19]
	v_mul_f64 v[76:77], v[140:141], s[2:3]
	v_mul_f64 v[78:79], v[116:117], s[0:1]
	;; [unrolled: 1-line block ×3, first 2 shown]
	v_add_f64 v[80:81], v[4:5], v[0:1]
	v_mul_f64 v[126:127], v[136:137], s[0:1]
	v_mul_f64 v[130:131], v[118:119], s[20:21]
	v_add_f64 v[52:53], v[52:53], v[14:15]
	v_mul_f64 v[132:133], v[68:69], s[12:13]
	v_add_f64 v[42:43], v[42:43], v[12:13]
	v_add_f64 v[50:51], v[54:55], v[50:51]
	v_mul_f64 v[54:55], v[58:59], s[18:19]
	v_add_f64 v[12:13], v[44:45], v[22:23]
	v_fma_f64 v[14:15], v[56:57], s[0:1], v[128:129]
	v_fma_f64 v[128:129], v[56:57], s[0:1], v[106:107]
	;; [unrolled: 1-line block ×4, first 2 shown]
	v_add_f64 v[84:85], v[8:9], v[32:33]
	v_fma_f64 v[146:147], v[64:65], s[0:1], v[72:73]
	v_fma_f64 v[148:149], v[66:67], s[0:1], v[74:75]
	;; [unrolled: 1-line block ×3, first 2 shown]
	v_add_f64 v[96:97], v[10:11], v[38:39]
	v_add_f64 v[82:83], v[6:7], v[2:3]
	v_fma_f64 v[76:77], v[110:111], s[0:1], v[76:77]
	v_fma_f64 v[78:79], v[136:137], s[2:3], -v[78:79]
	v_fma_f64 v[110:111], v[118:119], s[12:13], -v[112:113]
	v_fma_f64 v[112:113], v[140:141], s[0:1], v[122:123]
	v_fma_f64 v[116:117], v[116:117], s[14:15], -v[126:127]
	v_fma_f64 v[118:119], v[134:135], s[18:19], -v[130:131]
	v_add_f64 v[18:19], v[60:61], v[52:53]
	v_fma_f64 v[20:21], v[58:59], s[20:21], v[132:133]
	v_add_f64 v[22:23], v[46:47], v[42:43]
	v_fma_f64 v[42:43], v[64:65], s[0:1], v[138:139]
	;; [unrolled: 2-line block ×3, first 2 shown]
	v_add_f64 v[90:91], v[100:101], v[104:105]
	v_add_f64 v[94:95], v[102:103], v[108:109]
	v_add_f64 v[98:99], v[114:115], v[124:125]
	v_add_f64 v[52:53], v[4:5], -v[0:1]
	v_add_f64 v[56:57], v[8:9], -v[32:33]
	;; [unrolled: 1-line block ×8, first 2 shown]
	v_add_f64 v[104:105], v[142:143], v[76:77]
	v_add_f64 v[4:5], v[144:145], v[78:79]
	;; [unrolled: 1-line block ×6, first 2 shown]
	v_add_f64 v[60:61], v[12:13], -v[18:19]
	v_add_f64 v[8:9], v[14:15], -v[20:21]
	;; [unrolled: 1-line block ×10, first 2 shown]
	v_add_f64 v[86:87], v[30:31], v[120:121]
	v_add_f64 v[64:65], v[24:25], -v[34:35]
	v_add_f64 v[88:89], v[24:25], v[34:35]
	v_add_f64 v[68:69], v[28:29], -v[36:37]
	s_load_dwordx2 s[2:3], s[4:5], 0x8
	v_add_f64 v[92:93], v[28:29], v[36:37]
	v_mul_lo_u16 v24, v176, 10
	v_add_co_u32 v29, s0, 0x78, v176
	s_waitcnt lgkmcnt(0)
	s_barrier
	v_and_b32_e32 v24, 0xffff, v24
	buffer_gl0_inv
	v_add_lshl_u32 v28, v177, v24, 4
	v_add_co_ci_u32_e64 v24, null, 0, 0, s0
	v_mul_u32_u24_e32 v24, 10, v29
	ds_write_b128 v28, v[80:83]
	ds_write_b128 v28, v[84:87] offset:16
	ds_write_b128 v28, v[88:91] offset:32
	;; [unrolled: 1-line block ×5, first 2 shown]
	buffer_store_dword v24, off, s[24:27], 0 offset:332 ; 4-byte Folded Spill
	ds_write_b128 v28, v[56:59] offset:96
	ds_write_b128 v28, v[64:67] offset:112
	;; [unrolled: 1-line block ×4, first 2 shown]
	s_and_saveexec_b32 s0, vcc_lo
	s_cbranch_execz .LBB0_7
; %bb.6:
	v_add_f64 v[42:43], v[42:43], v[44:45]
	v_add_f64 v[46:47], v[40:41], v[22:23]
	;; [unrolled: 1-line block ×4, first 2 shown]
	v_mul_u32_u24_e32 v12, 10, v29
	v_add_lshl_u32 v12, v177, v12, 4
	ds_write_b128 v12, v[104:107] offset:32
	ds_write_b128 v12, v[4:7] offset:48
	;; [unrolled: 1-line block ×7, first 2 shown]
	ds_write_b128 v12, v[44:47]
	ds_write_b128 v12, v[40:43] offset:16
	ds_write_b128 v12, v[100:103] offset:144
.LBB0_7:
	s_or_b32 exec_lo, exec_lo, s0
	s_waitcnt lgkmcnt(0)
	s_waitcnt_vscnt null, 0x0
	s_barrier
	buffer_gl0_inv
	buffer_load_dword v12, off, s[24:27], 0 ; 4-byte Folded Reload
	v_cmp_gt_u16_e64 s0, 0x50, v176
	s_waitcnt vmcnt(0)
	ds_read_b128 v[108:111], v12
	ds_read_b128 v[12:15], v26 offset:1920
	ds_read_b128 v[84:87], v26 offset:5120
	;; [unrolled: 1-line block ×11, first 2 shown]
	s_and_saveexec_b32 s1, s0
	s_cbranch_execz .LBB0_9
; %bb.8:
	ds_read_b128 v[104:107], v26 offset:3840
	ds_read_b128 v[4:7], v26 offset:8960
	;; [unrolled: 1-line block ×6, first 2 shown]
.LBB0_9:
	s_or_b32 exec_lo, exec_lo, s1
	v_and_b32_e32 v18, 0xff, v176
	s_mov_b32 s12, 0xe8584caa
	s_mov_b32 s13, 0x3febb67a
	;; [unrolled: 1-line block ×4, first 2 shown]
	v_mul_lo_u16 v18, 0xcd, v18
	v_lshrrev_b16 v20, 11, v18
	v_mul_lo_u16 v18, v20, 10
	v_sub_nc_u16 v18, v176, v18
	v_and_b32_e32 v21, 0xff, v18
	v_mad_u64_u32 v[22:23], null, 0x50, v21, s[2:3]
	s_clause 0x1
	global_load_dwordx4 v[30:33], v[22:23], off
	global_load_dwordx4 v[34:37], v[22:23], off offset:16
	s_waitcnt vmcnt(1) lgkmcnt(9)
	v_mul_f64 v[18:19], v[86:87], v[32:33]
	v_fma_f64 v[132:133], v[84:85], v[30:31], -v[18:19]
	v_mul_f64 v[18:19], v[84:85], v[32:33]
	buffer_store_dword v30, off, s[24:27], 0 offset:196 ; 4-byte Folded Spill
	buffer_store_dword v31, off, s[24:27], 0 offset:200 ; 4-byte Folded Spill
	;; [unrolled: 1-line block ×4, first 2 shown]
	v_fma_f64 v[134:135], v[86:87], v[30:31], v[18:19]
	s_waitcnt vmcnt(0) lgkmcnt(7)
	v_mul_f64 v[18:19], v[70:71], v[36:37]
	v_fma_f64 v[136:137], v[68:69], v[34:35], -v[18:19]
	v_mul_f64 v[18:19], v[68:69], v[36:37]
	buffer_store_dword v34, off, s[24:27], 0 offset:212 ; 4-byte Folded Spill
	buffer_store_dword v35, off, s[24:27], 0 offset:216 ; 4-byte Folded Spill
	;; [unrolled: 1-line block ×4, first 2 shown]
	v_fma_f64 v[138:139], v[70:71], v[34:35], v[18:19]
	s_clause 0x2
	global_load_dwordx4 v[84:87], v[22:23], off offset:32
	global_load_dwordx4 v[68:71], v[22:23], off offset:48
	;; [unrolled: 1-line block ×3, first 2 shown]
	s_waitcnt vmcnt(2) lgkmcnt(5)
	v_mul_f64 v[18:19], v[94:95], v[86:87]
	s_waitcnt vmcnt(0) lgkmcnt(1)
	v_mul_f64 v[24:25], v[90:91], v[98:99]
	v_fma_f64 v[142:143], v[92:93], v[84:85], -v[18:19]
	v_mul_f64 v[18:19], v[92:93], v[86:87]
	v_fma_f64 v[170:171], v[88:89], v[96:97], -v[24:25]
	v_mul_f64 v[24:25], v[88:89], v[98:99]
	v_fma_f64 v[140:141], v[94:95], v[84:85], v[18:19]
	v_mul_f64 v[18:19], v[74:75], v[70:71]
	v_fma_f64 v[166:167], v[90:91], v[96:97], v[24:25]
	v_fma_f64 v[144:145], v[72:73], v[68:69], -v[18:19]
	v_mul_f64 v[18:19], v[72:73], v[70:71]
	v_fma_f64 v[146:147], v[74:75], v[68:69], v[18:19]
	v_and_b32_e32 v18, 0xff, v29
	v_mul_lo_u16 v18, 0xcd, v18
	v_lshrrev_b16 v19, 11, v18
	v_mul_lo_u16 v18, v19, 10
	v_sub_nc_u16 v18, v29, v18
	v_and_b32_e32 v18, 0xff, v18
	v_mad_u64_u32 v[22:23], null, 0x50, v18, s[2:3]
	global_load_dwordx4 v[72:75], v[22:23], off
	s_waitcnt vmcnt(0)
	v_mul_f64 v[24:25], v[82:83], v[74:75]
	v_fma_f64 v[148:149], v[80:81], v[72:73], -v[24:25]
	v_mul_f64 v[24:25], v[80:81], v[74:75]
	v_fma_f64 v[150:151], v[82:83], v[72:73], v[24:25]
	s_clause 0x1
	global_load_dwordx4 v[80:83], v[22:23], off offset:16
	global_load_dwordx4 v[88:91], v[22:23], off offset:32
	s_waitcnt vmcnt(1)
	v_mul_f64 v[24:25], v[78:79], v[82:83]
	v_fma_f64 v[152:153], v[76:77], v[80:81], -v[24:25]
	v_mul_f64 v[24:25], v[76:77], v[82:83]
	v_fma_f64 v[154:155], v[78:79], v[80:81], v[24:25]
	s_clause 0x1
	global_load_dwordx4 v[76:79], v[22:23], off offset:48
	global_load_dwordx4 v[92:95], v[22:23], off offset:64
	s_waitcnt vmcnt(2)
	v_mul_f64 v[24:25], v[54:55], v[90:91]
	v_fma_f64 v[158:159], v[52:53], v[88:89], -v[24:25]
	v_mul_f64 v[24:25], v[52:53], v[90:91]
	v_fma_f64 v[156:157], v[54:55], v[88:89], v[24:25]
	s_waitcnt vmcnt(1)
	v_mul_f64 v[22:23], v[46:47], v[78:79]
	v_fma_f64 v[160:161], v[44:45], v[76:77], -v[22:23]
	v_mul_f64 v[22:23], v[44:45], v[78:79]
	v_fma_f64 v[162:163], v[46:47], v[76:77], v[22:23]
	s_waitcnt vmcnt(0) lgkmcnt(0)
	v_mul_f64 v[22:23], v[42:43], v[94:95]
	v_fma_f64 v[168:169], v[40:41], v[92:93], -v[22:23]
	v_mul_f64 v[22:23], v[40:41], v[94:95]
	v_add_f64 v[39:40], v[138:139], -v[146:147]
	v_fma_f64 v[164:165], v[42:43], v[92:93], v[22:23]
	v_add_nc_u16 v23, v176, 0xf0
	v_mov_b32_e32 v22, 0xcccd
	v_add_f64 v[43:44], v[140:141], -v[166:167]
	v_add_f64 v[41:42], v[136:137], -v[144:145]
	v_mul_u32_u24_sdwa v22, v23, v22 dst_sel:DWORD dst_unused:UNUSED_PAD src0_sel:WORD_0 src1_sel:DWORD
	v_lshrrev_b32_e32 v22, 19, v22
	v_mul_lo_u16 v24, v22, 10
	v_sub_nc_u16 v23, v23, v24
	v_mul_lo_u16 v24, 0x50, v23
	v_mad_u16 v22, v22, 60, v23
	v_and_b32_e32 v24, 0xffff, v24
	v_add_co_u32 v24, s1, s2, v24
	v_add_co_ci_u32_e64 v25, null, s3, 0, s1
	s_clause 0x1
	global_load_dwordx4 v[35:38], v[24:25], off
	global_load_dwordx4 v[31:34], v[24:25], off offset:16
	s_waitcnt vmcnt(1)
	v_mul_f64 v[29:30], v[6:7], v[37:38]
	v_fma_f64 v[112:113], v[4:5], v[35:36], -v[29:30]
	v_mul_f64 v[4:5], v[4:5], v[37:38]
	buffer_store_dword v35, off, s[24:27], 0 offset:268 ; 4-byte Folded Spill
	buffer_store_dword v36, off, s[24:27], 0 offset:272 ; 4-byte Folded Spill
	;; [unrolled: 1-line block ×4, first 2 shown]
	v_fma_f64 v[116:117], v[6:7], v[35:36], v[4:5]
	s_waitcnt vmcnt(0)
	v_mul_f64 v[4:5], v[50:51], v[33:34]
	v_add_f64 v[6:7], v[134:135], v[140:141]
	v_fma_f64 v[114:115], v[48:49], v[31:32], -v[4:5]
	v_mul_f64 v[4:5], v[48:49], v[33:34]
	buffer_store_dword v31, off, s[24:27], 0 offset:252 ; 4-byte Folded Spill
	buffer_store_dword v32, off, s[24:27], 0 offset:256 ; 4-byte Folded Spill
	;; [unrolled: 1-line block ×4, first 2 shown]
	v_add_f64 v[6:7], v[6:7], v[166:167]
	v_fma_f64 v[120:121], v[50:51], v[31:32], v[4:5]
	s_clause 0x1
	global_load_dwordx4 v[33:36], v[24:25], off offset:32
	global_load_dwordx4 v[29:32], v[24:25], off offset:48
	s_waitcnt vmcnt(1)
	v_mul_f64 v[4:5], v[62:63], v[35:36]
	v_fma_f64 v[118:119], v[60:61], v[33:34], -v[4:5]
	v_mul_f64 v[4:5], v[60:61], v[35:36]
	buffer_store_dword v33, off, s[24:27], 0 offset:300 ; 4-byte Folded Spill
	buffer_store_dword v34, off, s[24:27], 0 offset:304 ; 4-byte Folded Spill
	;; [unrolled: 1-line block ×4, first 2 shown]
	v_fma_f64 v[128:129], v[62:63], v[33:34], v[4:5]
	s_waitcnt vmcnt(0)
	v_mul_f64 v[4:5], v[10:11], v[31:32]
	v_fma_f64 v[122:123], v[8:9], v[29:30], -v[4:5]
	v_mul_f64 v[4:5], v[8:9], v[31:32]
	buffer_store_dword v29, off, s[24:27], 0 offset:284 ; 4-byte Folded Spill
	buffer_store_dword v30, off, s[24:27], 0 offset:288 ; 4-byte Folded Spill
	;; [unrolled: 1-line block ×4, first 2 shown]
	v_fma_f64 v[8:9], v[10:11], v[29:30], v[4:5]
	global_load_dwordx4 v[29:32], v[24:25], off offset:64
	s_waitcnt vmcnt(0)
	v_mul_f64 v[4:5], v[2:3], v[31:32]
	v_fma_f64 v[10:11], v[0:1], v[29:30], -v[4:5]
	v_mul_f64 v[0:1], v[0:1], v[31:32]
	buffer_store_dword v29, off, s[24:27], 0 offset:316 ; 4-byte Folded Spill
	buffer_store_dword v30, off, s[24:27], 0 offset:320 ; 4-byte Folded Spill
	;; [unrolled: 1-line block ×4, first 2 shown]
	v_add_f64 v[4:5], v[132:133], v[142:143]
	s_waitcnt_vscnt null, 0x0
	s_barrier
	buffer_gl0_inv
	v_add_f64 v[4:5], v[4:5], v[170:171]
	v_fma_f64 v[130:131], v[2:3], v[29:30], v[0:1]
	v_add_f64 v[0:1], v[136:137], v[144:145]
	v_add_f64 v[2:3], v[110:111], v[138:139]
	v_mov_b32_e32 v29, 60
	v_fma_f64 v[24:25], v[0:1], -0.5, v[108:109]
	v_add_f64 v[0:1], v[138:139], v[146:147]
	v_add_f64 v[2:3], v[2:3], v[146:147]
	v_fma_f64 v[31:32], v[0:1], -0.5, v[110:111]
	v_add_f64 v[0:1], v[108:109], v[136:137]
	v_add_f64 v[110:111], v[2:3], v[6:7]
	v_add_f64 v[174:175], v[2:3], -v[6:7]
	v_add_f64 v[2:3], v[14:15], v[154:155]
	v_add_f64 v[0:1], v[0:1], v[144:145]
	;; [unrolled: 1-line block ×4, first 2 shown]
	v_add_f64 v[172:173], v[0:1], -v[4:5]
	v_add_f64 v[0:1], v[152:153], v[160:161]
	v_fma_f64 v[33:34], v[0:1], -0.5, v[12:13]
	v_add_f64 v[0:1], v[154:155], v[162:163]
	v_fma_f64 v[35:36], v[0:1], -0.5, v[14:15]
	v_add_f64 v[0:1], v[12:13], v[152:153]
	v_add_f64 v[4:5], v[0:1], v[160:161]
	;; [unrolled: 1-line block ×7, first 2 shown]
	v_add_f64 v[4:5], v[4:5], -v[12:13]
	v_mul_u32_u24_sdwa v12, v20, v29 dst_sel:DWORD dst_unused:UNUSED_PAD src0_sel:WORD_0 src1_sel:DWORD
	v_add_nc_u32_e32 v12, v12, v21
	v_add_f64 v[20:21], v[142:143], -v[170:171]
	v_add_lshl_u32 v27, v177, v12, 4
	v_add_f64 v[12:13], v[142:143], v[170:171]
	ds_write_b128 v27, v[108:111]
	ds_write_b128 v27, v[172:175] offset:480
	v_add_f64 v[2:3], v[6:7], v[14:15]
	v_add_f64 v[6:7], v[6:7], -v[14:15]
	v_add_f64 v[14:15], v[140:141], v[166:167]
	v_fma_f64 v[45:46], v[12:13], -0.5, v[132:133]
	v_fma_f64 v[132:133], v[39:40], s[12:13], v[24:25]
	v_fma_f64 v[24:25], v[39:40], s[4:5], v[24:25]
	v_add_f64 v[39:40], v[152:153], -v[160:161]
	v_fma_f64 v[37:38], v[14:15], -0.5, v[134:135]
	v_fma_f64 v[134:135], v[41:42], s[4:5], v[31:32]
	v_fma_f64 v[31:32], v[41:42], s[12:13], v[31:32]
	v_add_f64 v[41:42], v[156:157], -v[164:165]
	v_fma_f64 v[14:15], v[43:44], s[12:13], v[45:46]
	v_fma_f64 v[43:44], v[43:44], s[4:5], v[45:46]
	;; [unrolled: 1-line block ×6, first 2 shown]
	v_mul_f64 v[37:38], v[43:44], -0.5
	v_mul_f64 v[108:109], v[12:13], s[12:13]
	v_fma_f64 v[37:38], v[20:21], s[12:13], v[37:38]
	v_mul_f64 v[20:21], v[20:21], -0.5
	v_fma_f64 v[108:109], v[14:15], 0.5, v[108:109]
	v_mul_f64 v[14:15], v[14:15], s[4:5]
	v_add_f64 v[136:137], v[24:25], -v[37:38]
	v_fma_f64 v[20:21], v[43:44], s[4:5], v[20:21]
	v_fma_f64 v[110:111], v[12:13], 0.5, v[14:15]
	v_add_f64 v[12:13], v[132:133], v[108:109]
	v_add_f64 v[108:109], v[132:133], -v[108:109]
	v_add_f64 v[132:133], v[24:25], v[37:38]
	v_add_f64 v[24:25], v[158:159], -v[168:169]
	v_add_f64 v[37:38], v[154:155], -v[162:163]
	;; [unrolled: 1-line block ×3, first 2 shown]
	v_add_f64 v[14:15], v[134:135], v[110:111]
	v_add_f64 v[110:111], v[134:135], -v[110:111]
	v_add_f64 v[134:135], v[31:32], v[20:21]
	v_add_f64 v[31:32], v[156:157], v[164:165]
	v_add_f64 v[20:21], v[158:159], v[168:169]
	ds_write_b128 v27, v[12:15] offset:160
	ds_write_b128 v27, v[132:135] offset:320
	ds_write_b128 v27, v[108:111] offset:640
	ds_write_b128 v27, v[136:139] offset:800
	v_mul_u32_u24_sdwa v12, v19, v29 dst_sel:DWORD dst_unused:UNUSED_PAD src0_sel:WORD_0 src1_sel:DWORD
	v_fma_f64 v[31:32], v[31:32], -0.5, v[150:151]
	v_fma_f64 v[20:21], v[20:21], -0.5, v[148:149]
	v_add_f64 v[14:15], v[128:129], -v[130:131]
	v_add_nc_u32_e32 v12, v12, v18
	v_add_lshl_u32 v12, v177, v12, 4
	v_fma_f64 v[43:44], v[24:25], s[4:5], v[31:32]
	v_fma_f64 v[45:46], v[41:42], s[12:13], v[20:21]
	v_fma_f64 v[20:21], v[41:42], s[4:5], v[20:21]
	v_fma_f64 v[24:25], v[24:25], s[12:13], v[31:32]
	v_mul_f64 v[140:141], v[43:44], s[12:13]
	v_mul_f64 v[31:32], v[20:21], -0.5
	v_fma_f64 v[144:145], v[45:46], 0.5, v[140:141]
	v_mul_f64 v[45:46], v[45:46], s[4:5]
	v_fma_f64 v[31:32], v[24:25], s[12:13], v[31:32]
	v_mul_f64 v[24:25], v[24:25], -0.5
	v_fma_f64 v[43:44], v[43:44], 0.5, v[45:46]
	v_fma_f64 v[45:46], v[37:38], s[12:13], v[33:34]
	v_fma_f64 v[33:34], v[37:38], s[4:5], v[33:34]
	v_fma_f64 v[20:21], v[20:21], s[4:5], v[24:25]
	v_add_f64 v[142:143], v[146:147], v[43:44]
	v_add_f64 v[140:141], v[45:46], v[144:145]
	;; [unrolled: 1-line block ×4, first 2 shown]
	v_add_f64 v[144:145], v[45:46], -v[144:145]
	v_add_f64 v[146:147], v[146:147], -v[43:44]
	ds_write_b128 v12, v[0:3]
	ds_write_b128 v12, v[140:143] offset:160
	ds_write_b128 v12, v[148:151] offset:320
	;; [unrolled: 1-line block ×4, first 2 shown]
	v_add_f64 v[0:1], v[114:115], v[122:123]
	v_add_f64 v[4:5], v[120:121], -v[8:9]
	v_add_f64 v[152:153], v[33:34], -v[31:32]
	;; [unrolled: 1-line block ×3, first 2 shown]
	buffer_store_dword v12, off, s[24:27], 0 offset:232 ; 4-byte Folded Spill
	buffer_store_dword v22, off, s[24:27], 0 offset:228 ; 4-byte Folded Spill
	v_fma_f64 v[2:3], v[0:1], -0.5, v[104:105]
	ds_write_b128 v12, v[152:155] offset:800
	v_add_f64 v[12:13], v[114:115], -v[122:123]
	v_fma_f64 v[0:1], v[4:5], s[12:13], v[2:3]
	v_fma_f64 v[2:3], v[4:5], s[4:5], v[2:3]
	v_add_f64 v[4:5], v[120:121], v[8:9]
	v_fma_f64 v[6:7], v[4:5], -0.5, v[106:107]
	v_fma_f64 v[4:5], v[12:13], s[4:5], v[6:7]
	v_fma_f64 v[6:7], v[12:13], s[12:13], v[6:7]
	v_add_f64 v[12:13], v[118:119], v[10:11]
	v_fma_f64 v[12:13], v[12:13], -0.5, v[112:113]
	v_fma_f64 v[18:19], v[14:15], s[12:13], v[12:13]
	v_fma_f64 v[20:21], v[14:15], s[4:5], v[12:13]
	v_add_f64 v[12:13], v[128:129], v[130:131]
	v_add_f64 v[14:15], v[118:119], -v[10:11]
	v_fma_f64 v[12:13], v[12:13], -0.5, v[116:117]
	v_fma_f64 v[24:25], v[14:15], s[4:5], v[12:13]
	v_fma_f64 v[31:32], v[14:15], s[12:13], v[12:13]
	v_mul_f64 v[14:15], v[18:19], s[4:5]
	v_mul_f64 v[12:13], v[24:25], s[12:13]
	v_fma_f64 v[12:13], v[18:19], 0.5, v[12:13]
	v_fma_f64 v[18:19], v[24:25], 0.5, v[14:15]
	v_mul_f64 v[14:15], v[20:21], -0.5
	v_mul_f64 v[24:25], v[31:32], -0.5
	v_add_f64 v[204:205], v[0:1], -v[12:13]
	v_add_f64 v[206:207], v[4:5], -v[18:19]
	v_fma_f64 v[14:15], v[31:32], s[12:13], v[14:15]
	v_fma_f64 v[20:21], v[20:21], s[4:5], v[24:25]
	v_add_f64 v[200:201], v[2:3], -v[14:15]
	v_add_f64 v[202:203], v[6:7], -v[20:21]
	s_and_saveexec_b32 s1, s0
	s_cbranch_execz .LBB0_11
; %bb.10:
	v_add_f64 v[33:34], v[112:113], v[118:119]
	v_add_f64 v[22:23], v[106:107], v[120:121]
	v_add_f64 v[24:25], v[116:117], v[128:129]
	v_add_f64 v[31:32], v[104:105], v[114:115]
	v_add_f64 v[6:7], v[6:7], v[20:21]
	v_add_f64 v[33:34], v[33:34], v[10:11]
	v_add_f64 v[10:11], v[4:5], v[18:19]
	buffer_load_dword v18, off, s[24:27], 0 offset:228 ; 4-byte Folded Reload
	v_add_f64 v[22:23], v[22:23], v[8:9]
	v_add_f64 v[24:25], v[24:25], v[130:131]
	;; [unrolled: 1-line block ×7, first 2 shown]
	v_add_f64 v[2:3], v[22:23], -v[24:25]
	v_add_f64 v[0:1], v[31:32], -v[33:34]
	s_waitcnt vmcnt(0)
	v_and_b32_e32 v18, 0xffff, v18
	v_add_lshl_u32 v18, v177, v18, 4
	ds_write_b128 v18, v[204:207] offset:640
	ds_write_b128 v18, v[8:11] offset:160
	;; [unrolled: 1-line block ×3, first 2 shown]
	ds_write_b128 v18, v[12:15]
	ds_write_b128 v18, v[0:3] offset:480
	ds_write_b128 v18, v[200:203] offset:800
.LBB0_11:
	s_or_b32 exec_lo, exec_lo, s1
	v_subrev_nc_u32_e32 v0, 60, v176
	v_cmp_gt_u16_e64 s1, 60, v176
	s_waitcnt lgkmcnt(0)
	s_waitcnt_vscnt null, 0x0
	s_barrier
	buffer_gl0_inv
	v_mov_b32_e32 v29, v176
	v_cndmask_b32_e64 v4, v0, v176, s1
	v_mov_b32_e32 v47, v177
	s_mov_b32 s4, 0x667f3bcd
	s_mov_b32 s5, 0xbfe6a09e
	;; [unrolled: 1-line block ×3, first 2 shown]
	v_mul_i32_i24_e32 v0, 0xf0, v4
	v_mul_hi_i32_i24_e32 v1, 0xf0, v4
	s_mov_b32 s12, s4
	s_mov_b32 s14, 0xcf328d46
	;; [unrolled: 1-line block ×3, first 2 shown]
	v_add_co_u32 v13, s1, s2, v0
	v_add_co_ci_u32_e64 v14, s1, s3, v1, s1
	s_mov_b32 s23, 0x3fed906b
	s_mov_b32 s22, s14
	s_clause 0x5
	global_load_dwordx4 v[116:119], v[13:14], off offset:800
	global_load_dwordx4 v[112:115], v[13:14], off offset:816
	;; [unrolled: 1-line block ×6, first 2 shown]
	ds_read_b128 v[0:3], v26 offset:1920
	ds_read_b128 v[5:8], v26 offset:3840
	;; [unrolled: 1-line block ×3, first 2 shown]
	global_load_dwordx4 v[132:135], v[13:14], off offset:896
	ds_read_b128 v[136:139], v26 offset:7680
	ds_read_b128 v[140:143], v26 offset:9600
	buffer_load_dword v30, off, s[24:27], 0 ; 4-byte Folded Reload
	s_mov_b32 s18, 0xa6aea964
	s_mov_b32 s19, 0xbfd87de2
	s_mov_b32 s21, 0x3fd87de2
	s_mov_b32 s20, s18
	v_cmp_lt_u16_e64 s1, 59, v29
	v_cndmask_b32_e64 v15, 0, 0x3c0, s1
	v_or_b32_e32 v4, v4, v15
	s_waitcnt vmcnt(7) lgkmcnt(4)
	v_mul_f64 v[22:23], v[2:3], v[118:119]
	v_mul_f64 v[24:25], v[0:1], v[118:119]
	s_waitcnt vmcnt(5) lgkmcnt(2)
	v_mul_f64 v[35:36], v[11:12], v[106:107]
	v_mul_f64 v[37:38], v[9:10], v[106:107]
	;; [unrolled: 3-line block ×3, first 2 shown]
	v_mul_f64 v[31:32], v[7:8], v[114:115]
	v_mul_f64 v[33:34], v[5:6], v[114:115]
	s_waitcnt vmcnt(3) lgkmcnt(0)
	v_mul_f64 v[43:44], v[142:143], v[122:123]
	v_mul_f64 v[45:46], v[140:141], v[122:123]
	s_waitcnt vmcnt(0)
	ds_read_b128 v[18:21], v30
	v_fma_f64 v[22:23], v[0:1], v[116:117], -v[22:23]
	v_fma_f64 v[24:25], v[2:3], v[116:117], v[24:25]
	v_fma_f64 v[9:10], v[9:10], v[104:105], -v[35:36]
	v_fma_f64 v[11:12], v[11:12], v[104:105], v[37:38]
	v_fma_f64 v[35:36], v[136:137], v[108:109], -v[39:40]
	v_fma_f64 v[37:38], v[138:139], v[108:109], v[41:42]
	global_load_dwordx4 v[136:139], v[13:14], off offset:912
	ds_read_b128 v[0:3], v26 offset:11520
	v_fma_f64 v[31:32], v[5:6], v[112:113], -v[31:32]
	v_fma_f64 v[33:34], v[7:8], v[112:113], v[33:34]
	ds_read_b128 v[5:8], v26 offset:13440
	v_fma_f64 v[39:40], v[140:141], v[120:121], -v[43:44]
	v_fma_f64 v[41:42], v[142:143], v[120:121], v[45:46]
	s_waitcnt lgkmcnt(1)
	v_mul_f64 v[43:44], v[2:3], v[130:131]
	v_mul_f64 v[45:46], v[0:1], v[130:131]
	v_fma_f64 v[43:44], v[0:1], v[128:129], -v[43:44]
	s_waitcnt lgkmcnt(0)
	v_mul_f64 v[0:1], v[7:8], v[134:135]
	v_fma_f64 v[45:46], v[2:3], v[128:129], v[45:46]
	v_fma_f64 v[168:169], v[5:6], v[132:133], -v[0:1]
	v_mul_f64 v[0:1], v[5:6], v[134:135]
	v_fma_f64 v[170:171], v[7:8], v[132:133], v[0:1]
	ds_read_b128 v[0:3], v26 offset:15360
	ds_read_b128 v[5:8], v26 offset:17280
	s_waitcnt vmcnt(0) lgkmcnt(1)
	v_mul_f64 v[140:141], v[2:3], v[138:139]
	v_fma_f64 v[172:173], v[0:1], v[136:137], -v[140:141]
	s_clause 0x1
	global_load_dwordx4 v[140:143], v[13:14], off offset:928
	global_load_dwordx4 v[144:147], v[13:14], off offset:944
	v_mul_f64 v[0:1], v[0:1], v[138:139]
	v_fma_f64 v[174:175], v[2:3], v[136:137], v[0:1]
	s_waitcnt vmcnt(1) lgkmcnt(0)
	v_mul_f64 v[0:1], v[7:8], v[142:143]
	v_fma_f64 v[176:177], v[5:6], v[140:141], -v[0:1]
	v_mul_f64 v[0:1], v[5:6], v[142:143]
	v_fma_f64 v[178:179], v[7:8], v[140:141], v[0:1]
	ds_read_b128 v[0:3], v26 offset:19200
	ds_read_b128 v[5:8], v26 offset:21120
	s_waitcnt vmcnt(0) lgkmcnt(1)
	v_mul_f64 v[148:149], v[2:3], v[146:147]
	v_fma_f64 v[180:181], v[0:1], v[144:145], -v[148:149]
	s_clause 0x1
	global_load_dwordx4 v[148:151], v[13:14], off offset:960
	global_load_dwordx4 v[152:155], v[13:14], off offset:976
	v_mul_f64 v[0:1], v[0:1], v[146:147]
	v_add_f64 v[180:181], v[31:32], -v[180:181]
	v_fma_f64 v[182:183], v[2:3], v[144:145], v[0:1]
	v_fma_f64 v[31:32], v[31:32], 2.0, -v[180:181]
	v_add_f64 v[182:183], v[33:34], -v[182:183]
	v_fma_f64 v[33:34], v[33:34], 2.0, -v[182:183]
	s_waitcnt vmcnt(1) lgkmcnt(0)
	v_mul_f64 v[0:1], v[7:8], v[150:151]
	v_fma_f64 v[184:185], v[5:6], v[148:149], -v[0:1]
	v_mul_f64 v[0:1], v[5:6], v[150:151]
	v_add_f64 v[184:185], v[9:10], -v[184:185]
	v_fma_f64 v[186:187], v[7:8], v[148:149], v[0:1]
	ds_read_b128 v[0:3], v26 offset:23040
	ds_read_b128 v[5:8], v26 offset:24960
	s_waitcnt vmcnt(0) lgkmcnt(1)
	v_mul_f64 v[156:157], v[2:3], v[154:155]
	v_add_f64 v[186:187], v[11:12], -v[186:187]
	v_fma_f64 v[188:189], v[0:1], v[152:153], -v[156:157]
	s_clause 0x1
	global_load_dwordx4 v[156:159], v[13:14], off offset:992
	global_load_dwordx4 v[164:167], v[13:14], off offset:1008
	v_mul_f64 v[0:1], v[0:1], v[154:155]
	v_fma_f64 v[190:191], v[2:3], v[152:153], v[0:1]
	s_waitcnt vmcnt(1) lgkmcnt(0)
	v_mul_f64 v[0:1], v[7:8], v[158:159]
	v_fma_f64 v[192:193], v[5:6], v[156:157], -v[0:1]
	v_mul_f64 v[0:1], v[5:6], v[158:159]
	v_fma_f64 v[194:195], v[7:8], v[156:157], v[0:1]
	ds_read_b128 v[0:3], v26 offset:26880
	ds_read_b128 v[5:8], v26 offset:28800
	buffer_store_dword v47, off, s[24:27], 0 offset:8 ; 4-byte Folded Spill
	s_waitcnt vmcnt(0) lgkmcnt(1)
	v_mul_f64 v[160:161], v[2:3], v[166:167]
	v_fma_f64 v[196:197], v[0:1], v[164:165], -v[160:161]
	global_load_dwordx4 v[160:163], v[13:14], off offset:1024
	v_mul_f64 v[0:1], v[0:1], v[166:167]
	s_waitcnt vmcnt(0) lgkmcnt(0)
	s_waitcnt_vscnt null, 0x0
	s_barrier
	buffer_gl0_inv
	v_fma_f64 v[198:199], v[2:3], v[164:165], v[0:1]
	v_add_f64 v[2:3], v[20:21], -v[174:175]
	v_fma_f64 v[174:175], v[20:21], 2.0, -v[2:3]
	v_add_f64 v[20:21], v[37:38], -v[190:191]
	v_add_f64 v[190:191], v[45:46], -v[198:199]
	;; [unrolled: 1-line block ×4, first 2 shown]
	v_fma_f64 v[24:25], v[24:25], 2.0, -v[198:199]
	v_fma_f64 v[41:42], v[41:42], 2.0, -v[178:179]
	v_add_f64 v[41:42], v[24:25], -v[41:42]
	v_fma_f64 v[24:25], v[24:25], 2.0, -v[41:42]
	v_mul_f64 v[0:1], v[7:8], v[162:163]
	v_fma_f64 v[13:14], v[5:6], v[160:161], -v[0:1]
	v_mul_f64 v[0:1], v[5:6], v[162:163]
	v_add_f64 v[13:14], v[168:169], -v[13:14]
	v_fma_f64 v[5:6], v[7:8], v[160:161], v[0:1]
	v_add_f64 v[0:1], v[18:19], -v[172:173]
	v_fma_f64 v[7:8], v[37:38], 2.0, -v[20:21]
	v_fma_f64 v[37:38], v[45:46], 2.0, -v[190:191]
	;; [unrolled: 1-line block ×3, first 2 shown]
	v_add_f64 v[190:191], v[180:181], -v[190:191]
	v_fma_f64 v[11:12], v[168:169], 2.0, -v[13:14]
	v_add_f64 v[13:14], v[186:187], v[13:14]
	v_fma_f64 v[172:173], v[18:19], 2.0, -v[0:1]
	v_add_f64 v[18:19], v[35:36], -v[188:189]
	v_add_f64 v[188:189], v[43:44], -v[196:197]
	;; [unrolled: 1-line block ×8, first 2 shown]
	v_fma_f64 v[5:6], v[35:36], 2.0, -v[18:19]
	v_fma_f64 v[35:36], v[43:44], 2.0, -v[188:189]
	;; [unrolled: 1-line block ×6, first 2 shown]
	v_add_f64 v[224:225], v[2:3], v[18:19]
	v_add_f64 v[188:189], v[182:183], v[188:189]
	v_fma_f64 v[18:19], v[190:191], s[12:13], v[222:223]
	v_add_f64 v[226:227], v[196:197], -v[178:179]
	v_add_f64 v[192:193], v[184:185], -v[192:193]
	v_add_f64 v[228:229], v[198:199], v[176:177]
	v_fma_f64 v[33:34], v[33:34], 2.0, -v[37:38]
	v_add_f64 v[194:195], v[172:173], -v[5:6]
	v_add_f64 v[35:36], v[31:32], -v[35:36]
	;; [unrolled: 1-line block ×5, first 2 shown]
	v_fma_f64 v[230:231], v[188:189], s[4:5], v[18:19]
	v_fma_f64 v[18:19], v[188:189], s[12:13], v[224:225]
	v_add_f64 v[214:215], v[194:195], -v[37:38]
	v_add_f64 v[216:217], v[208:209], v[35:36]
	v_add_f64 v[11:12], v[41:42], v[212:213]
	v_fma_f64 v[31:32], v[31:32], 2.0, -v[35:36]
	v_fma_f64 v[22:23], v[22:23], 2.0, -v[39:40]
	v_add_f64 v[9:10], v[39:40], -v[210:211]
	v_fma_f64 v[35:36], v[45:46], 2.0, -v[210:211]
	v_fma_f64 v[37:38], v[43:44], 2.0, -v[212:213]
	;; [unrolled: 1-line block ×3, first 2 shown]
	v_fma_f64 v[234:235], v[190:191], s[12:13], v[18:19]
	v_fma_f64 v[18:19], v[192:193], s[12:13], v[226:227]
	v_fma_f64 v[45:46], v[198:199], 2.0, -v[228:229]
	v_fma_f64 v[43:44], v[2:3], 2.0, -v[224:225]
	;; [unrolled: 1-line block ×5, first 2 shown]
	v_fma_f64 v[7:8], v[11:12], s[12:13], v[216:217]
	v_fma_f64 v[194:195], v[172:173], 2.0, -v[194:195]
	v_fma_f64 v[208:209], v[174:175], 2.0, -v[208:209]
	v_fma_f64 v[5:6], v[9:10], s[12:13], v[214:215]
	v_fma_f64 v[168:169], v[39:40], 2.0, -v[9:10]
	v_fma_f64 v[238:239], v[224:225], 2.0, -v[234:235]
	v_fma_f64 v[7:8], v[9:10], s[12:13], v[7:8]
	v_fma_f64 v[9:10], v[41:42], 2.0, -v[11:12]
	v_add_f64 v[39:40], v[194:195], -v[31:32]
	v_fma_f64 v[5:6], v[11:12], s[4:5], v[5:6]
	v_fma_f64 v[11:12], v[168:169], s[4:5], v[218:219]
	v_add_f64 v[32:33], v[208:209], -v[33:34]
	v_add_f64 v[34:35], v[24:25], -v[35:36]
	;; [unrolled: 1-line block ×3, first 2 shown]
	v_add_lshl_u32 v31, v47, v4, 4
	v_fma_f64 v[41:42], v[0:1], 2.0, -v[222:223]
	v_fma_f64 v[0:1], v[180:181], 2.0, -v[190:191]
	v_fma_f64 v[170:171], v[9:10], s[4:5], v[220:221]
	ds_write_b128 v31, v[5:8] offset:13440
	v_fma_f64 v[9:10], v[9:10], s[4:5], v[11:12]
	v_add_f64 v[172:173], v[39:40], -v[34:35]
	v_add_f64 v[174:175], v[32:33], v[36:37]
	v_fma_f64 v[11:12], v[168:169], s[12:13], v[170:171]
	v_fma_f64 v[168:169], v[13:14], s[4:5], v[18:19]
	;; [unrolled: 1-line block ×3, first 2 shown]
	v_fma_f64 v[13:14], v[186:187], 2.0, -v[13:14]
	ds_write_b128 v31, v[172:175] offset:11520
	v_fma_f64 v[176:177], v[226:227], 2.0, -v[168:169]
	v_fma_f64 v[170:171], v[192:193], s[12:13], v[18:19]
	v_fma_f64 v[18:19], v[168:169], s[22:23], v[230:231]
	;; [unrolled: 1-line block ×5, first 2 shown]
	v_fma_f64 v[168:169], v[228:229], 2.0, -v[170:171]
	v_fma_f64 v[170:171], v[176:177], s[18:19], v[236:237]
	ds_write_b128 v31, v[18:21] offset:14400
	v_fma_f64 v[178:179], v[168:169], s[18:19], v[238:239]
	v_fma_f64 v[168:169], v[168:169], s[14:15], v[170:171]
	;; [unrolled: 1-line block ×3, first 2 shown]
	v_fma_f64 v[176:177], v[39:40], 2.0, -v[172:173]
	v_fma_f64 v[178:179], v[32:33], 2.0, -v[174:175]
	;; [unrolled: 1-line block ×8, first 2 shown]
	ds_write_b128 v31, v[176:179] offset:3840
	ds_write_b128 v31, v[172:175] offset:5760
	;; [unrolled: 1-line block ×3, first 2 shown]
	v_fma_f64 v[32:33], v[208:209], 2.0, -v[32:33]
	v_fma_f64 v[4:5], v[22:23], 2.0, -v[36:37]
	;; [unrolled: 1-line block ×3, first 2 shown]
	v_fma_f64 v[180:181], v[20:21], s[4:5], v[18:19]
	ds_write_b128 v31, v[9:12] offset:9600
	ds_write_b128 v31, v[168:171] offset:10560
	v_add_f64 v[6:7], v[32:33], -v[6:7]
	v_fma_f64 v[180:181], v[13:14], s[4:5], v[180:181]
	v_fma_f64 v[13:14], v[13:14], s[4:5], v[45:46]
	v_fma_f64 v[174:175], v[32:33], 2.0, -v[6:7]
	v_fma_f64 v[13:14], v[20:21], s[12:13], v[13:14]
	v_fma_f64 v[20:21], v[2:3], s[4:5], v[43:44]
	v_fma_f64 v[182:183], v[0:1], s[12:13], v[20:21]
	v_fma_f64 v[0:1], v[0:1], s[4:5], v[41:42]
	v_fma_f64 v[20:21], v[18:19], 2.0, -v[180:181]
	v_fma_f64 v[43:44], v[43:44], 2.0, -v[182:183]
	v_fma_f64 v[184:185], v[2:3], s[4:5], v[0:1]
	v_fma_f64 v[0:1], v[13:14], s[20:21], v[182:183]
	;; [unrolled: 1-line block ×3, first 2 shown]
	v_fma_f64 v[41:42], v[41:42], 2.0, -v[184:185]
	v_fma_f64 v[2:3], v[180:181], s[22:23], v[0:1]
	v_fma_f64 v[0:1], v[13:14], s[14:15], v[18:19]
	v_fma_f64 v[13:14], v[45:46], 2.0, -v[13:14]
	v_fma_f64 v[18:19], v[20:21], s[14:15], v[41:42]
	v_fma_f64 v[45:46], v[13:14], s[14:15], v[43:44]
	v_fma_f64 v[18:19], v[13:14], s[18:19], v[18:19]
	v_fma_f64 v[13:14], v[194:195], 2.0, -v[39:40]
	v_fma_f64 v[20:21], v[20:21], s[20:21], v[45:46]
	v_add_f64 v[4:5], v[13:14], -v[4:5]
	v_fma_f64 v[172:173], v[13:14], 2.0, -v[4:5]
	ds_write_b128 v31, v[4:7] offset:7680
	v_fma_f64 v[4:5], v[218:219], 2.0, -v[9:10]
	v_fma_f64 v[6:7], v[220:221], 2.0, -v[11:12]
	;; [unrolled: 1-line block ×6, first 2 shown]
	ds_write_b128 v31, v[0:3] offset:12480
	ds_write_b128 v31, v[172:175]
	ds_write_b128 v31, v[4:7] offset:1920
	ds_write_b128 v31, v[8:11] offset:2880
	;; [unrolled: 1-line block ×3, first 2 shown]
	v_fma_f64 v[3:4], v[41:42], 2.0, -v[18:19]
	v_fma_f64 v[5:6], v[43:44], 2.0, -v[20:21]
	v_lshlrev_b32_e32 v2, 4, v29
	buffer_store_dword v29, off, s[24:27], 0 offset:4 ; 4-byte Folded Spill
	ds_write_b128 v31, v[18:21] offset:8640
	v_add_co_u32 v15, s1, s2, v2
	v_add_co_ci_u32_e64 v29, null, s3, 0, s1
	s_add_u32 s2, s16, 0x7800
	v_add_co_u32 v0, s1, 0x3800, v15
	v_add_co_ci_u32_e64 v1, s1, 0, v29, s1
	s_addc_u32 s3, s17, 0
	ds_write_b128 v31, v[3:6] offset:960
	v_add_co_u32 v3, s1, 0x4000, v15
	v_add_co_ci_u32_e64 v4, s1, 0, v29, s1
	s_waitcnt lgkmcnt(0)
	s_waitcnt_vscnt null, 0x0
	s_barrier
	buffer_gl0_inv
	s_clause 0x1
	global_load_dwordx4 v[172:175], v[0:1], off offset:864
	global_load_dwordx4 v[168:171], v[3:4], off offset:736
	ds_read_b128 v[3:6], v26 offset:15360
	ds_read_b128 v[7:10], v26 offset:17280
	s_waitcnt vmcnt(1) lgkmcnt(1)
	v_mul_f64 v[0:1], v[5:6], v[174:175]
	v_fma_f64 v[0:1], v[3:4], v[172:173], -v[0:1]
	v_mul_f64 v[3:4], v[3:4], v[174:175]
	v_fma_f64 v[13:14], v[5:6], v[172:173], v[3:4]
	s_waitcnt vmcnt(0) lgkmcnt(0)
	v_mul_f64 v[3:4], v[9:10], v[170:171]
	v_fma_f64 v[18:19], v[7:8], v[168:169], -v[3:4]
	v_mul_f64 v[3:4], v[7:8], v[170:171]
	v_fma_f64 v[20:21], v[9:10], v[168:169], v[3:4]
	v_add_co_u32 v3, s1, 0x4800, v15
	v_add_co_ci_u32_e64 v4, s1, 0, v29, s1
	v_add_co_u32 v5, s1, 0x5000, v15
	v_add_co_ci_u32_e64 v6, s1, 0, v29, s1
	s_clause 0x1
	global_load_dwordx4 v[180:183], v[3:4], off offset:608
	global_load_dwordx4 v[176:179], v[5:6], off offset:480
	ds_read_b128 v[3:6], v26 offset:19200
	ds_read_b128 v[7:10], v26 offset:21120
	s_waitcnt vmcnt(1) lgkmcnt(1)
	v_mul_f64 v[11:12], v[5:6], v[182:183]
	v_fma_f64 v[22:23], v[3:4], v[180:181], -v[11:12]
	v_mul_f64 v[3:4], v[3:4], v[182:183]
	v_fma_f64 v[24:25], v[5:6], v[180:181], v[3:4]
	s_waitcnt vmcnt(0) lgkmcnt(0)
	v_mul_f64 v[3:4], v[9:10], v[178:179]
	v_fma_f64 v[32:33], v[7:8], v[176:177], -v[3:4]
	v_mul_f64 v[3:4], v[7:8], v[178:179]
	v_fma_f64 v[34:35], v[9:10], v[176:177], v[3:4]
	v_add_co_u32 v3, s1, 0x5800, v15
	v_add_co_ci_u32_e64 v4, s1, 0, v29, s1
	v_add_co_u32 v5, s1, 0x6000, v15
	v_add_co_ci_u32_e64 v6, s1, 0, v29, s1
	s_clause 0x1
	global_load_dwordx4 v[188:191], v[3:4], off offset:352
	global_load_dwordx4 v[184:187], v[5:6], off offset:224
	ds_read_b128 v[3:6], v26 offset:23040
	ds_read_b128 v[7:10], v26 offset:24960
	s_waitcnt vmcnt(1) lgkmcnt(1)
	v_mul_f64 v[11:12], v[5:6], v[190:191]
	v_fma_f64 v[36:37], v[3:4], v[188:189], -v[11:12]
	v_mul_f64 v[3:4], v[3:4], v[190:191]
	v_fma_f64 v[38:39], v[5:6], v[188:189], v[3:4]
	s_waitcnt vmcnt(0) lgkmcnt(0)
	v_mul_f64 v[3:4], v[9:10], v[186:187]
	v_fma_f64 v[40:41], v[7:8], v[184:185], -v[3:4]
	v_mul_f64 v[3:4], v[7:8], v[186:187]
	v_fma_f64 v[42:43], v[9:10], v[184:185], v[3:4]
	v_add_co_u32 v3, s1, 0x6800, v15
	v_add_co_ci_u32_e64 v4, s1, 0, v29, s1
	s_clause 0x1
	global_load_dwordx4 v[192:195], v[3:4], off offset:96
	global_load_dwordx4 v[196:199], v[3:4], off offset:2016
	ds_read_b128 v[3:6], v26 offset:26880
	ds_read_b128 v[7:10], v26 offset:28800
	s_waitcnt vmcnt(1) lgkmcnt(1)
	v_mul_f64 v[11:12], v[5:6], v[194:195]
	v_fma_f64 v[44:45], v[3:4], v[192:193], -v[11:12]
	v_mul_f64 v[3:4], v[3:4], v[194:195]
	v_fma_f64 v[46:47], v[5:6], v[192:193], v[3:4]
	s_waitcnt vmcnt(0) lgkmcnt(0)
	v_mul_f64 v[3:4], v[9:10], v[198:199]
	v_fma_f64 v[254:255], v[7:8], v[196:197], -v[3:4]
	v_mul_f64 v[3:4], v[7:8], v[198:199]
	v_fma_f64 v[232:233], v[9:10], v[196:197], v[3:4]
	ds_read_b128 v[3:6], v30
	ds_read_b128 v[7:10], v26 offset:1920
	ds_read_b128 v[208:211], v26 offset:3840
	;; [unrolled: 1-line block ×3, first 2 shown]
	s_waitcnt lgkmcnt(3)
	v_add_f64 v[11:12], v[3:4], -v[0:1]
	s_waitcnt lgkmcnt(1)
	v_add_f64 v[234:235], v[208:209], -v[22:23]
	v_add_f64 v[236:237], v[210:211], -v[24:25]
	s_waitcnt lgkmcnt(0)
	v_add_f64 v[242:243], v[212:213], -v[32:33]
	v_add_f64 v[244:245], v[214:215], -v[34:35]
	;; [unrolled: 1-line block ×5, first 2 shown]
	v_add_co_u32 v0, s1, s2, v2
	v_add_co_ci_u32_e64 v1, null, s3, 0, s1
	v_fma_f64 v[3:4], v[3:4], 2.0, -v[11:12]
	v_fma_f64 v[238:239], v[208:209], 2.0, -v[234:235]
	;; [unrolled: 1-line block ×5, first 2 shown]
	ds_read_b128 v[208:211], v26 offset:7680
	ds_read_b128 v[212:215], v26 offset:9600
	;; [unrolled: 1-line block ×4, first 2 shown]
	v_fma_f64 v[5:6], v[5:6], 2.0, -v[13:14]
	v_fma_f64 v[7:8], v[7:8], 2.0, -v[18:19]
	;; [unrolled: 1-line block ×3, first 2 shown]
	s_waitcnt lgkmcnt(3)
	v_add_f64 v[250:251], v[208:209], -v[36:37]
	v_add_f64 v[252:253], v[210:211], -v[38:39]
	v_fma_f64 v[22:23], v[208:209], 2.0, -v[250:251]
	v_fma_f64 v[24:25], v[210:211], 2.0, -v[252:253]
	s_waitcnt lgkmcnt(2)
	v_add_f64 v[208:209], v[212:213], -v[40:41]
	v_add_f64 v[210:211], v[214:215], -v[42:43]
	ds_write_b128 v30, v[3:6]
	ds_write_b128 v26, v[11:14] offset:15360
	ds_write_b128 v26, v[7:10] offset:1920
	;; [unrolled: 1-line block ×9, first 2 shown]
	v_add_co_u32 v3, s1, 0x800, v0
	v_add_co_ci_u32_e64 v4, s1, 0, v1, s1
	v_fma_f64 v[220:221], v[212:213], 2.0, -v[208:209]
	v_fma_f64 v[222:223], v[214:215], 2.0, -v[210:211]
	s_waitcnt lgkmcnt(11)
	v_add_f64 v[212:213], v[216:217], -v[44:45]
	v_add_f64 v[214:215], v[218:219], -v[46:47]
	v_fma_f64 v[224:225], v[216:217], 2.0, -v[212:213]
	v_fma_f64 v[226:227], v[218:219], 2.0, -v[214:215]
	s_waitcnt lgkmcnt(10)
	v_add_f64 v[216:217], v[228:229], -v[254:255]
	v_add_f64 v[218:219], v[230:231], -v[232:233]
	v_fma_f64 v[228:229], v[228:229], 2.0, -v[216:217]
	v_fma_f64 v[230:231], v[230:231], 2.0, -v[218:219]
	ds_write_b128 v26, v[220:223] offset:9600
	ds_write_b128 v26, v[208:211] offset:24960
	;; [unrolled: 1-line block ×6, first 2 shown]
	s_waitcnt lgkmcnt(0)
	s_barrier
	buffer_gl0_inv
	s_clause 0x1
	global_load_dwordx4 v[3:6], v[3:4], off offset:1024
	global_load_dwordx4 v[7:10], v2, s[2:3]
	ds_read_b128 v[11:14], v30
	s_waitcnt vmcnt(0) lgkmcnt(0)
	v_mul_f64 v[18:19], v[13:14], v[9:10]
	v_mul_f64 v[20:21], v[11:12], v[9:10]
	v_fma_f64 v[9:10], v[11:12], v[7:8], -v[18:19]
	v_fma_f64 v[11:12], v[13:14], v[7:8], v[20:21]
	ds_write_b128 v30, v[9:12]
	ds_read_b128 v[7:10], v26 offset:3072
	ds_read_b128 v[11:14], v26 offset:6144
	buffer_load_dword v2, off, s[24:27], 0 offset:244 ; 4-byte Folded Reload
	s_waitcnt lgkmcnt(1)
	v_mul_f64 v[18:19], v[9:10], v[5:6]
	v_mul_f64 v[20:21], v[7:8], v[5:6]
	v_fma_f64 v[5:6], v[7:8], v[3:4], -v[18:19]
	v_fma_f64 v[7:8], v[9:10], v[3:4], v[20:21]
	s_waitcnt vmcnt(0)
	global_load_dwordx4 v[18:21], v2, s[2:3]
	buffer_load_dword v2, off, s[24:27], 0 offset:248 ; 4-byte Folded Reload
	s_waitcnt vmcnt(0)
	global_load_dwordx4 v[22:25], v2, s[2:3]
	s_waitcnt lgkmcnt(0)
	v_mul_f64 v[2:3], v[13:14], v[20:21]
	v_mul_f64 v[20:21], v[11:12], v[20:21]
	v_fma_f64 v[9:10], v[11:12], v[18:19], -v[2:3]
	v_add_co_u32 v2, s1, 0x2000, v0
	v_add_co_ci_u32_e64 v3, s1, 0, v1, s1
	v_fma_f64 v[11:12], v[13:14], v[18:19], v[20:21]
	v_add_co_u32 v13, s1, 0x3800, v0
	v_add_co_ci_u32_e64 v14, s1, 0, v1, s1
	s_clause 0x1
	global_load_dwordx4 v[18:21], v[2:3], off offset:1024
	global_load_dwordx4 v[232:235], v[13:14], off offset:1024
	ds_read_b128 v[236:239], v26 offset:9216
	ds_read_b128 v[240:243], v26 offset:12288
	s_waitcnt vmcnt(1) lgkmcnt(1)
	v_mul_f64 v[2:3], v[238:239], v[20:21]
	v_mul_f64 v[13:14], v[236:237], v[20:21]
	v_fma_f64 v[236:237], v[236:237], v[18:19], -v[2:3]
	v_fma_f64 v[238:239], v[238:239], v[18:19], v[13:14]
	s_waitcnt lgkmcnt(0)
	v_mul_f64 v[2:3], v[242:243], v[24:25]
	v_mul_f64 v[13:14], v[240:241], v[24:25]
	v_fma_f64 v[18:19], v[240:241], v[22:23], -v[2:3]
	v_fma_f64 v[20:21], v[242:243], v[22:23], v[13:14]
	ds_read_b128 v[22:25], v26 offset:15360
	ds_read_b128 v[240:243], v26 offset:18432
	s_waitcnt vmcnt(0) lgkmcnt(1)
	v_mul_f64 v[2:3], v[24:25], v[234:235]
	v_mul_f64 v[13:14], v[22:23], v[234:235]
	v_fma_f64 v[22:23], v[22:23], v[232:233], -v[2:3]
	buffer_load_dword v2, off, s[24:27], 0 offset:240 ; 4-byte Folded Reload
	v_fma_f64 v[24:25], v[24:25], v[232:233], v[13:14]
	s_waitcnt vmcnt(0)
	global_load_dwordx4 v[232:235], v2, s[2:3]
	buffer_load_dword v2, off, s[24:27], 0 offset:236 ; 4-byte Folded Reload
	s_waitcnt vmcnt(1) lgkmcnt(0)
	v_mul_f64 v[13:14], v[240:241], v[234:235]
	s_waitcnt vmcnt(0)
	global_load_dwordx4 v[244:247], v2, s[2:3]
	v_mul_f64 v[2:3], v[242:243], v[234:235]
	v_fma_f64 v[242:243], v[242:243], v[232:233], v[13:14]
	v_fma_f64 v[240:241], v[240:241], v[232:233], -v[2:3]
	v_add_co_u32 v2, s1, 0x5000, v0
	v_add_co_ci_u32_e64 v3, s1, 0, v1, s1
	v_add_co_u32 v13, s1, 0x6800, v0
	v_add_co_ci_u32_e64 v14, s1, 0, v1, s1
	s_clause 0x1
	global_load_dwordx4 v[232:235], v[2:3], off offset:1024
	global_load_dwordx4 v[248:251], v[13:14], off offset:1024
	ds_read_b128 v[252:255], v26 offset:21504
	ds_read_b128 v[32:35], v26 offset:24576
	s_waitcnt vmcnt(1) lgkmcnt(1)
	v_mul_f64 v[2:3], v[254:255], v[234:235]
	v_mul_f64 v[13:14], v[252:253], v[234:235]
	v_fma_f64 v[252:253], v[252:253], v[232:233], -v[2:3]
	v_fma_f64 v[254:255], v[254:255], v[232:233], v[13:14]
	s_waitcnt lgkmcnt(0)
	v_mul_f64 v[2:3], v[34:35], v[246:247]
	v_mul_f64 v[13:14], v[32:33], v[246:247]
	ds_read_b128 v[232:235], v26 offset:27648
	v_fma_f64 v[32:33], v[32:33], v[244:245], -v[2:3]
	v_fma_f64 v[34:35], v[34:35], v[244:245], v[13:14]
	s_waitcnt vmcnt(0) lgkmcnt(0)
	v_mul_f64 v[2:3], v[234:235], v[250:251]
	v_mul_f64 v[13:14], v[232:233], v[250:251]
	v_fma_f64 v[232:233], v[232:233], v[248:249], -v[2:3]
	v_fma_f64 v[234:235], v[234:235], v[248:249], v[13:14]
	ds_write_b128 v26, v[5:8] offset:3072
	ds_write_b128 v26, v[9:12] offset:6144
	;; [unrolled: 1-line block ×9, first 2 shown]
	s_and_saveexec_b32 s2, vcc_lo
	s_cbranch_execz .LBB0_13
; %bb.12:
	v_add_co_u32 v6, s1, 0x1000, v0
	v_add_co_ci_u32_e64 v7, s1, 0, v1, s1
	v_add_co_u32 v10, s1, 0x1800, v0
	v_add_co_ci_u32_e64 v11, s1, 0, v1, s1
	v_add_co_u32 v14, s1, 0x2800, v0
	global_load_dwordx4 v[2:5], v[0:1], off offset:1920
	v_add_co_ci_u32_e64 v15, s1, 0, v1, s1
	s_clause 0x2
	global_load_dwordx4 v[6:9], v[6:7], off offset:896
	global_load_dwordx4 v[10:13], v[10:11], off offset:1920
	;; [unrolled: 1-line block ×3, first 2 shown]
	v_add_co_u32 v14, s1, 0x3000, v0
	v_add_co_ci_u32_e64 v15, s1, 0, v1, s1
	global_load_dwordx4 v[22:25], v[14:15], off offset:1920
	v_add_co_u32 v14, s1, 0x4000, v0
	v_add_co_ci_u32_e64 v15, s1, 0, v1, s1
	global_load_dwordx4 v[32:35], v[14:15], off offset:896
	v_add_co_u32 v14, s1, 0x4800, v0
	v_add_co_ci_u32_e64 v15, s1, 0, v1, s1
	v_add_co_u32 v36, s1, 0x5800, v0
	v_add_co_ci_u32_e64 v37, s1, 0, v1, s1
	v_add_co_u32 v38, s1, 0x6000, v0
	v_add_co_ci_u32_e64 v39, s1, 0, v1, s1
	v_add_co_u32 v0, s1, 0x7000, v0
	v_add_co_ci_u32_e64 v1, s1, 0, v1, s1
	s_clause 0x3
	global_load_dwordx4 v[232:235], v[14:15], off offset:1920
	global_load_dwordx4 v[236:239], v[36:37], off offset:896
	;; [unrolled: 1-line block ×4, first 2 shown]
	ds_read_b128 v[248:251], v26 offset:1920
	ds_read_b128 v[252:255], v26 offset:4992
	;; [unrolled: 1-line block ×5, first 2 shown]
	s_waitcnt vmcnt(9) lgkmcnt(4)
	v_mul_f64 v[0:1], v[250:251], v[4:5]
	v_mul_f64 v[4:5], v[248:249], v[4:5]
	s_waitcnt vmcnt(8) lgkmcnt(3)
	v_mul_f64 v[48:49], v[254:255], v[8:9]
	v_mul_f64 v[8:9], v[252:253], v[8:9]
	;; [unrolled: 3-line block ×3, first 2 shown]
	ds_read_b128 v[12:15], v26 offset:17280
	s_waitcnt vmcnt(6) lgkmcnt(2)
	v_mul_f64 v[54:55], v[42:43], v[20:21]
	v_mul_f64 v[20:21], v[40:41], v[20:21]
	v_fma_f64 v[0:1], v[248:249], v[2:3], -v[0:1]
	v_fma_f64 v[2:3], v[250:251], v[2:3], v[4:5]
	v_fma_f64 v[4:5], v[252:253], v[6:7], -v[48:49]
	s_waitcnt vmcnt(5) lgkmcnt(1)
	v_mul_f64 v[48:49], v[46:47], v[24:25]
	v_mul_f64 v[24:25], v[44:45], v[24:25]
	v_fma_f64 v[6:7], v[254:255], v[6:7], v[8:9]
	v_fma_f64 v[8:9], v[36:37], v[10:11], -v[50:51]
	s_waitcnt vmcnt(4) lgkmcnt(0)
	v_mul_f64 v[50:51], v[14:15], v[34:35]
	v_fma_f64 v[10:11], v[38:39], v[10:11], v[52:53]
	ds_read_b128 v[36:39], v26 offset:20352
	ds_read_b128 v[248:251], v26 offset:23424
	v_fma_f64 v[40:41], v[40:41], v[18:19], -v[54:55]
	v_fma_f64 v[42:43], v[42:43], v[18:19], v[20:21]
	ds_read_b128 v[18:21], v26 offset:26496
	ds_read_b128 v[252:255], v26 offset:29568
	v_mul_f64 v[34:35], v[12:13], v[34:35]
	v_fma_f64 v[44:45], v[44:45], v[22:23], -v[48:49]
	v_fma_f64 v[46:47], v[46:47], v[22:23], v[24:25]
	s_waitcnt vmcnt(3) lgkmcnt(3)
	v_mul_f64 v[22:23], v[38:39], v[234:235]
	v_mul_f64 v[24:25], v[36:37], v[234:235]
	s_waitcnt vmcnt(2) lgkmcnt(2)
	v_mul_f64 v[48:49], v[250:251], v[238:239]
	v_mul_f64 v[52:53], v[248:249], v[238:239]
	v_fma_f64 v[12:13], v[12:13], v[32:33], -v[50:51]
	s_waitcnt vmcnt(1) lgkmcnt(1)
	v_mul_f64 v[50:51], v[20:21], v[242:243]
	v_mul_f64 v[54:55], v[18:19], v[242:243]
	s_waitcnt vmcnt(0) lgkmcnt(0)
	v_mul_f64 v[234:235], v[254:255], v[246:247]
	v_mul_f64 v[238:239], v[252:253], v[246:247]
	v_fma_f64 v[14:15], v[14:15], v[32:33], v[34:35]
	v_fma_f64 v[22:23], v[36:37], v[232:233], -v[22:23]
	v_fma_f64 v[24:25], v[38:39], v[232:233], v[24:25]
	v_fma_f64 v[32:33], v[248:249], v[236:237], -v[48:49]
	;; [unrolled: 2-line block ×4, first 2 shown]
	v_fma_f64 v[38:39], v[254:255], v[244:245], v[238:239]
	ds_write_b128 v26, v[0:3] offset:1920
	ds_write_b128 v26, v[4:7] offset:4992
	;; [unrolled: 1-line block ×10, first 2 shown]
.LBB0_13:
	s_or_b32 exec_lo, exec_lo, s2
	s_waitcnt lgkmcnt(0)
	s_barrier
	buffer_gl0_inv
	buffer_load_dword v0, off, s[24:27], 0  ; 4-byte Folded Reload
	s_waitcnt vmcnt(0)
	ds_read_b128 v[4:7], v0
	ds_read_b128 v[0:3], v26 offset:3072
	ds_read_b128 v[248:251], v26 offset:6144
	;; [unrolled: 1-line block ×9, first 2 shown]
	s_and_saveexec_b32 s1, vcc_lo
	s_cbranch_execz .LBB0_15
; %bb.14:
	s_clause 0x1
	buffer_load_dword v18, off, s[24:27], 0 offset:8
	buffer_load_dword v19, off, s[24:27], 0 offset:4
	s_waitcnt vmcnt(1)
	v_lshlrev_b32_e32 v18, 4, v18
	s_waitcnt vmcnt(0)
	v_lshl_add_u32 v18, v19, 4, v18
	ds_read_b128 v[220:223], v26 offset:1920
	ds_read_b128 v[216:219], v26 offset:17280
	;; [unrolled: 1-line block ×10, first 2 shown]
.LBB0_15:
	s_or_b32 exec_lo, exec_lo, s1
	s_waitcnt lgkmcnt(7)
	v_add_f64 v[18:19], v[4:5], v[248:249]
	s_waitcnt lgkmcnt(3)
	v_add_f64 v[32:33], v[252:253], v[240:241]
	v_add_f64 v[34:35], v[248:249], -v[252:253]
	v_add_f64 v[36:37], v[252:253], -v[248:249]
	v_add_f64 v[38:39], v[254:255], v[242:243]
	v_add_f64 v[20:21], v[252:253], -v[240:241]
	s_waitcnt lgkmcnt(1)
	v_add_f64 v[46:47], v[248:249], v[244:245]
	v_add_f64 v[48:49], v[248:249], -v[244:245]
	v_add_f64 v[52:53], v[244:245], -v[240:241]
	;; [unrolled: 1-line block ×7, first 2 shown]
	v_add_f64 v[50:51], v[250:251], v[246:247]
	v_add_f64 v[62:63], v[232:233], -v[236:237]
	v_add_f64 v[29:30], v[236:237], -v[8:9]
	s_waitcnt lgkmcnt(0)
	v_add_f64 v[64:65], v[232:233], -v[12:13]
	v_add_f64 v[56:57], v[238:239], -v[234:235]
	;; [unrolled: 1-line block ×3, first 2 shown]
	v_add_f64 v[66:67], v[234:235], v[14:15]
	s_mov_b32 s12, 0x134454ff
	v_add_f64 v[22:23], v[18:19], v[252:253]
	v_add_f64 v[18:19], v[6:7], v[250:251]
	v_add_f64 v[250:251], v[236:237], -v[232:233]
	v_add_f64 v[252:253], v[238:239], v[10:11]
	v_fma_f64 v[32:33], v[32:33], -0.5, v[4:5]
	s_mov_b32 s13, 0xbfee6f0e
	v_fma_f64 v[4:5], v[46:47], -0.5, v[4:5]
	s_mov_b32 s15, 0x3fee6f0e
	s_mov_b32 s14, s12
	v_add_f64 v[60:61], v[238:239], -v[10:11]
	v_fma_f64 v[38:39], v[38:39], -0.5, v[6:7]
	s_mov_b32 s2, 0x4755a5e
	s_mov_b32 s3, 0xbfe2cf23
	;; [unrolled: 1-line block ×3, first 2 shown]
	v_fma_f64 v[6:7], v[50:51], -0.5, v[6:7]
	s_mov_b32 s4, s2
	s_mov_b32 s18, 0x372fe950
	;; [unrolled: 1-line block ×5, first 2 shown]
	v_add_f64 v[36:37], v[36:37], v[54:55]
	v_add_f64 v[42:43], v[42:43], v[248:249]
	;; [unrolled: 1-line block ×4, first 2 shown]
	v_add_f64 v[18:19], v[254:255], -v[242:243]
	v_add_f64 v[240:241], v[246:247], -v[242:243]
	v_add_f64 v[254:255], v[234:235], -v[238:239]
	v_fma_f64 v[46:47], v[252:253], -0.5, v[2:3]
	s_mov_b32 s21, 0xbfd3c6ef
	s_mov_b32 s20, s18
	;; [unrolled: 1-line block ×4, first 2 shown]
	s_barrier
	buffer_gl0_inv
	v_add_f64 v[22:23], v[22:23], v[244:245]
	v_add_f64 v[24:25], v[24:25], v[242:243]
	;; [unrolled: 1-line block ×4, first 2 shown]
	v_fma_f64 v[2:3], v[66:67], -0.5, v[2:3]
	v_add_f64 v[24:25], v[24:25], v[246:247]
	v_add_f64 v[242:243], v[242:243], v[236:237]
	;; [unrolled: 1-line block ×7, first 2 shown]
	v_add_f64 v[242:243], v[12:13], -v[8:9]
	v_add_f64 v[8:9], v[8:9], -v[12:13]
	;; [unrolled: 1-line block ×4, first 2 shown]
	v_fma_f64 v[50:51], v[246:247], -0.5, v[0:1]
	v_fma_f64 v[0:1], v[236:237], -0.5, v[0:1]
	v_add_f64 v[12:13], v[232:233], v[12:13]
	v_add_f64 v[14:15], v[234:235], v[14:15]
	;; [unrolled: 1-line block ×4, first 2 shown]
	v_fma_f64 v[54:55], v[60:61], s[14:15], v[0:1]
	v_fma_f64 v[0:1], v[60:61], s[12:13], v[0:1]
	v_add_f64 v[236:237], v[22:23], v[12:13]
	v_add_f64 v[232:233], v[22:23], -v[12:13]
	v_fma_f64 v[12:13], v[64:65], s[14:15], v[46:47]
	v_add_f64 v[238:239], v[24:25], v[14:15]
	v_add_f64 v[234:235], v[24:25], -v[14:15]
	v_add_f64 v[24:25], v[40:41], v[240:241]
	v_add_f64 v[40:41], v[254:255], v[244:245]
	v_fma_f64 v[14:15], v[58:59], s[12:13], v[50:51]
	v_add_f64 v[22:23], v[34:35], v[52:53]
	v_add_f64 v[34:35], v[62:63], v[242:243]
	v_fma_f64 v[54:55], v[58:59], s[2:3], v[54:55]
	v_fma_f64 v[0:1], v[58:59], s[4:5], v[0:1]
	;; [unrolled: 1-line block ×8, first 2 shown]
	v_mul_f64 v[52:53], v[12:13], s[2:3]
	v_fma_f64 v[52:53], v[14:15], s[16:17], v[52:53]
	v_mul_f64 v[14:15], v[14:15], s[4:5]
	v_fma_f64 v[62:63], v[12:13], s[16:17], v[14:15]
	v_fma_f64 v[12:13], v[44:45], s[12:13], v[32:33]
	;; [unrolled: 1-line block ×7, first 2 shown]
	v_add_f64 v[12:13], v[66:67], v[52:53]
	v_add_f64 v[240:241], v[66:67], -v[52:53]
	v_fma_f64 v[52:53], v[29:30], s[12:13], v[2:3]
	v_fma_f64 v[2:3], v[29:30], s[14:15], v[2:3]
	v_add_f64 v[14:15], v[242:243], v[62:63]
	v_add_f64 v[242:243], v[242:243], -v[62:63]
	v_fma_f64 v[62:63], v[20:21], s[12:13], v[6:7]
	v_add_f64 v[66:67], v[218:219], v[202:203]
	ds_write_b128 v28, v[236:239]
	ds_write_b128 v28, v[12:15] offset:16
	v_fma_f64 v[52:53], v[64:65], s[4:5], v[52:53]
	v_fma_f64 v[2:3], v[64:65], s[2:3], v[2:3]
	;; [unrolled: 1-line block ×3, first 2 shown]
	v_fma_f64 v[66:67], v[66:67], -0.5, v[210:211]
	v_fma_f64 v[52:53], v[10:11], s[18:19], v[52:53]
	v_fma_f64 v[2:3], v[10:11], s[18:19], v[2:3]
	;; [unrolled: 1-line block ×4, first 2 shown]
	v_add_f64 v[50:51], v[124:125], -v[204:205]
	v_add_f64 v[58:59], v[216:217], v[200:201]
	v_mul_f64 v[56:57], v[52:53], s[12:13]
	v_mul_f64 v[52:53], v[52:53], s[18:19]
	v_fma_f64 v[10:11], v[60:61], s[4:5], v[10:11]
	v_add_f64 v[60:61], v[218:219], -v[202:203]
	v_fma_f64 v[58:59], v[58:59], -0.5, v[208:209]
	v_fma_f64 v[56:57], v[54:55], s[18:19], v[56:57]
	v_fma_f64 v[52:53], v[54:55], s[14:15], v[52:53]
	;; [unrolled: 1-line block ×4, first 2 shown]
	v_add_f64 v[254:255], v[62:63], v[52:53]
	v_fma_f64 v[54:55], v[44:45], s[2:3], v[54:55]
	v_fma_f64 v[4:5], v[44:45], s[4:5], v[4:5]
	v_add_f64 v[246:247], v[62:63], -v[52:53]
	v_add_f64 v[52:53], v[204:205], -v[124:125]
	;; [unrolled: 1-line block ×3, first 2 shown]
	v_fma_f64 v[54:55], v[36:37], s[18:19], v[54:55]
	v_fma_f64 v[36:37], v[36:37], s[18:19], v[4:5]
	;; [unrolled: 1-line block ×3, first 2 shown]
	v_add_f64 v[252:253], v[54:55], v[56:57]
	v_add_f64 v[244:245], v[54:55], -v[56:57]
	v_fma_f64 v[4:5], v[48:49], s[2:3], v[4:5]
	v_add_f64 v[54:55], v[126:127], -v[206:207]
	v_add_f64 v[56:57], v[206:207], -v[126:127]
	v_fma_f64 v[42:43], v[42:43], s[18:19], v[4:5]
	v_mul_f64 v[4:5], v[2:3], s[12:13]
	v_mul_f64 v[2:3], v[2:3], s[20:21]
	v_fma_f64 v[8:9], v[0:1], s[20:21], v[4:5]
	v_fma_f64 v[0:1], v[0:1], s[14:15], v[2:3]
	;; [unrolled: 1-line block ×3, first 2 shown]
	v_add_f64 v[32:33], v[228:229], -v[224:225]
	v_add_f64 v[44:45], v[124:125], v[224:225]
	v_add_f64 v[4:5], v[36:37], v[8:9]
	v_add_f64 v[6:7], v[42:43], v[0:1]
	v_add_f64 v[250:251], v[42:43], -v[0:1]
	v_fma_f64 v[0:1], v[64:65], s[12:13], v[46:47]
	v_add_f64 v[248:249], v[36:37], -v[8:9]
	v_fma_f64 v[8:9], v[48:49], s[12:13], v[38:39]
	v_fma_f64 v[2:3], v[18:19], s[4:5], v[2:3]
	v_add_f64 v[46:47], v[224:225], -v[124:125]
	v_add_f64 v[36:37], v[228:229], -v[204:205]
	;; [unrolled: 1-line block ×4, first 2 shown]
	v_add_f64 v[48:49], v[126:127], v[226:227]
	v_add_f64 v[64:65], v[216:217], -v[212:213]
	v_fma_f64 v[44:45], v[44:45], -0.5, v[220:221]
	v_add_f64 v[32:33], v[52:53], v[32:33]
	ds_write_b128 v28, v[252:255] offset:32
	ds_write_b128 v28, v[4:7] offset:48
	;; [unrolled: 1-line block ×3, first 2 shown]
	v_fma_f64 v[0:1], v[29:30], s[2:3], v[0:1]
	v_add_f64 v[29:30], v[224:225], -v[228:229]
	v_fma_f64 v[8:9], v[20:21], s[2:3], v[8:9]
	v_fma_f64 v[2:3], v[22:23], s[18:19], v[2:3]
	v_fma_f64 v[48:49], v[48:49], -0.5, v[222:223]
	v_fma_f64 v[0:1], v[40:41], s[18:19], v[0:1]
	v_add_f64 v[40:41], v[230:231], -v[226:227]
	v_fma_f64 v[18:19], v[24:25], s[18:19], v[8:9]
	v_fma_f64 v[8:9], v[34:35], s[18:19], v[10:11]
	v_add_f64 v[24:25], v[230:231], -v[206:207]
	v_add_f64 v[34:35], v[206:207], v[230:231]
	v_add_f64 v[12:13], v[50:51], v[29:30]
	v_mul_f64 v[10:11], v[0:1], s[2:3]
	v_mul_f64 v[0:1], v[0:1], s[22:23]
	v_add_f64 v[40:41], v[56:57], v[40:41]
	v_fma_f64 v[29:30], v[24:25], s[12:13], v[44:45]
	v_fma_f64 v[34:35], v[34:35], -0.5, v[222:223]
	v_fma_f64 v[20:21], v[8:9], s[22:23], v[10:11]
	v_fma_f64 v[22:23], v[8:9], s[4:5], v[0:1]
	v_add_f64 v[8:9], v[2:3], v[20:21]
	v_add_f64 v[10:11], v[18:19], v[22:23]
	v_add_f64 v[0:1], v[2:3], -v[20:21]
	v_add_f64 v[2:3], v[18:19], -v[22:23]
	v_add_f64 v[18:19], v[224:225], v[220:221]
	v_add_f64 v[20:21], v[226:227], v[222:223]
	;; [unrolled: 1-line block ×3, first 2 shown]
	ds_write_b128 v28, v[8:11] offset:64
	ds_write_b128 v28, v[240:243] offset:96
	;; [unrolled: 1-line block ×5, first 2 shown]
	v_add_f64 v[18:19], v[228:229], v[18:19]
	v_add_f64 v[20:21], v[230:231], v[20:21]
	v_fma_f64 v[22:23], v[22:23], -0.5, v[220:221]
	v_add_f64 v[220:221], v[102:103], -v[202:203]
	v_add_f64 v[18:19], v[204:205], v[18:19]
	v_add_f64 v[20:21], v[206:207], v[20:21]
	v_add_f64 v[204:205], v[216:217], -v[200:201]
	v_add_f64 v[206:207], v[214:215], -v[218:219]
	v_fma_f64 v[14:15], v[42:43], s[12:13], v[22:23]
	v_fma_f64 v[22:23], v[42:43], s[14:15], v[22:23]
	v_add_f64 v[224:225], v[124:125], v[18:19]
	v_add_f64 v[18:19], v[212:213], v[208:209]
	;; [unrolled: 1-line block ×4, first 2 shown]
	v_add_f64 v[124:125], v[218:219], -v[214:215]
	v_add_f64 v[126:127], v[100:101], v[212:213]
	v_add_f64 v[212:213], v[212:213], -v[100:101]
	v_fma_f64 v[14:15], v[24:25], s[2:3], v[14:15]
	v_fma_f64 v[22:23], v[24:25], s[4:5], v[22:23]
	v_add_f64 v[18:19], v[216:217], v[18:19]
	v_add_f64 v[216:217], v[214:215], -v[102:103]
	v_add_f64 v[214:215], v[102:103], v[214:215]
	v_add_f64 v[20:21], v[218:219], v[20:21]
	v_add_f64 v[218:219], v[100:101], -v[200:201]
	v_fma_f64 v[208:209], v[126:127], -0.5, v[208:209]
	v_fma_f64 v[14:15], v[12:13], s[18:19], v[14:15]
	v_fma_f64 v[12:13], v[12:13], s[18:19], v[22:23]
	v_add_f64 v[18:19], v[200:201], v[18:19]
	v_add_f64 v[200:201], v[200:201], -v[100:101]
	v_fma_f64 v[214:215], v[214:215], -0.5, v[210:211]
	v_add_f64 v[20:21], v[202:203], v[20:21]
	v_add_f64 v[202:203], v[202:203], -v[102:103]
	v_fma_f64 v[50:51], v[216:217], s[12:13], v[58:59]
	v_add_f64 v[18:19], v[100:101], v[18:19]
	v_add_f64 v[52:53], v[200:201], v[64:65]
	v_fma_f64 v[64:65], v[204:205], s[12:13], v[214:215]
	v_fma_f64 v[100:101], v[60:61], s[14:15], v[208:209]
	v_add_f64 v[56:57], v[202:203], v[124:125]
	v_add_f64 v[20:21], v[102:103], v[20:21]
	v_fma_f64 v[50:51], v[60:61], s[2:3], v[50:51]
	v_fma_f64 v[64:65], v[212:213], s[4:5], v[64:65]
	v_fma_f64 v[100:101], v[216:217], s[2:3], v[100:101]
	v_add_f64 v[210:211], v[226:227], -v[20:21]
	v_fma_f64 v[64:65], v[56:57], s[18:19], v[64:65]
	v_fma_f64 v[100:101], v[52:53], s[18:19], v[100:101]
	v_mul_f64 v[102:103], v[64:65], s[12:13]
	v_mul_f64 v[64:65], v[64:65], s[18:19]
	v_fma_f64 v[124:125], v[100:101], s[18:19], v[102:103]
	v_fma_f64 v[64:65], v[100:101], s[14:15], v[64:65]
	v_fma_f64 v[100:101], v[24:25], s[14:15], v[44:45]
	v_fma_f64 v[44:45], v[204:205], s[14:15], v[214:215]
	v_fma_f64 v[102:103], v[36:37], s[12:13], v[48:49]
	v_fma_f64 v[24:25], v[42:43], s[4:5], v[29:30]
	v_add_f64 v[29:30], v[54:55], v[38:39]
	v_fma_f64 v[38:39], v[46:47], s[14:15], v[34:35]
	v_fma_f64 v[34:35], v[46:47], s[12:13], v[34:35]
	v_fma_f64 v[54:55], v[216:217], s[14:15], v[58:59]
	v_fma_f64 v[58:59], v[60:61], s[12:13], v[208:209]
	v_add_f64 v[208:209], v[224:225], -v[18:19]
	v_fma_f64 v[100:101], v[42:43], s[2:3], v[100:101]
	v_fma_f64 v[42:43], v[36:37], s[14:15], v[48:49]
	;; [unrolled: 1-line block ×9, first 2 shown]
	v_add_f64 v[60:61], v[220:221], v[206:207]
	v_fma_f64 v[22:23], v[32:33], s[18:19], v[24:25]
	v_fma_f64 v[126:127], v[32:33], s[18:19], v[100:101]
	;; [unrolled: 1-line block ×7, first 2 shown]
	v_add_f64 v[42:43], v[218:219], v[62:63]
	v_fma_f64 v[218:219], v[29:30], s[18:19], v[38:39]
	v_fma_f64 v[32:33], v[52:53], s[18:19], v[58:59]
	;; [unrolled: 1-line block ×3, first 2 shown]
	v_add_f64 v[100:101], v[126:127], v[124:125]
	v_fma_f64 v[228:229], v[40:41], s[18:19], v[36:37]
	v_fma_f64 v[46:47], v[204:205], s[4:5], v[46:47]
	;; [unrolled: 1-line block ×3, first 2 shown]
	v_mul_f64 v[38:39], v[44:45], s[12:13]
	v_mul_f64 v[40:41], v[44:45], s[20:21]
	v_fma_f64 v[24:25], v[42:43], s[18:19], v[54:55]
	v_fma_f64 v[29:30], v[42:43], s[18:19], v[50:51]
	v_add_f64 v[102:103], v[200:201], v[64:65]
	v_add_f64 v[124:125], v[126:127], -v[124:125]
	v_add_f64 v[126:127], v[200:201], -v[64:65]
	v_fma_f64 v[34:35], v[60:61], s[18:19], v[46:47]
	v_fma_f64 v[216:217], v[32:33], s[20:21], v[38:39]
	;; [unrolled: 1-line block ×3, first 2 shown]
	v_mul_f64 v[32:33], v[36:37], s[2:3]
	v_mul_f64 v[36:37], v[36:37], s[22:23]
	v_add_f64 v[200:201], v[22:23], v[216:217]
	v_add_f64 v[202:203], v[228:229], v[238:239]
	v_fma_f64 v[220:221], v[24:25], s[22:23], v[32:33]
	v_mul_f64 v[32:33], v[34:35], s[2:3]
	v_mul_f64 v[34:35], v[34:35], s[16:17]
	v_fma_f64 v[24:25], v[24:25], s[4:5], v[36:37]
	v_add_f64 v[204:205], v[12:13], v[220:221]
	v_fma_f64 v[222:223], v[29:30], s[16:17], v[32:33]
	v_fma_f64 v[236:237], v[29:30], s[4:5], v[34:35]
	v_add_f64 v[206:207], v[230:231], v[24:25]
	v_add_f64 v[212:213], v[14:15], -v[222:223]
	v_add_f64 v[214:215], v[218:219], -v[236:237]
	s_and_saveexec_b32 s1, vcc_lo
	s_cbranch_execz .LBB0_17
; %bb.16:
	v_add_f64 v[0:1], v[12:13], -v[220:221]
	s_clause 0x1
	buffer_load_dword v12, off, s[24:27], 0 offset:8
	buffer_load_dword v13, off, s[24:27], 0 offset:332
	v_add_f64 v[20:21], v[20:21], v[226:227]
	v_add_f64 v[18:19], v[18:19], v[224:225]
	;; [unrolled: 1-line block ×4, first 2 shown]
	v_add_f64 v[6:7], v[228:229], -v[238:239]
	v_add_f64 v[4:5], v[22:23], -v[216:217]
	;; [unrolled: 1-line block ×3, first 2 shown]
	s_waitcnt vmcnt(0)
	v_add_lshl_u32 v12, v12, v13, 4
	ds_write_b128 v12, v[100:103] offset:32
	ds_write_b128 v12, v[200:203] offset:48
	;; [unrolled: 1-line block ×6, first 2 shown]
	ds_write_b128 v12, v[18:21]
	ds_write_b128 v12, v[8:11] offset:16
	ds_write_b128 v12, v[4:7] offset:128
	;; [unrolled: 1-line block ×3, first 2 shown]
.LBB0_17:
	s_or_b32 exec_lo, exec_lo, s1
	s_waitcnt lgkmcnt(0)
	s_barrier
	buffer_gl0_inv
	buffer_load_dword v0, off, s[24:27], 0  ; 4-byte Folded Reload
	s_waitcnt vmcnt(0)
	ds_read_b128 v[4:7], v0
	ds_read_b128 v[0:3], v26 offset:1920
	ds_read_b128 v[220:223], v26 offset:5120
	;; [unrolled: 1-line block ×11, first 2 shown]
	s_and_saveexec_b32 s1, s0
	s_cbranch_execz .LBB0_19
; %bb.18:
	ds_read_b128 v[100:103], v26 offset:3840
	ds_read_b128 v[200:203], v26 offset:8960
	;; [unrolled: 1-line block ×6, first 2 shown]
.LBB0_19:
	s_or_b32 exec_lo, exec_lo, s1
	s_clause 0x7
	buffer_load_dword v42, off, s[24:27], 0 offset:212
	buffer_load_dword v43, off, s[24:27], 0 offset:216
	;; [unrolled: 1-line block ×8, first 2 shown]
	s_waitcnt lgkmcnt(5)
	v_mul_f64 v[18:19], v[86:87], v[240:241]
	s_waitcnt lgkmcnt(1)
	v_mul_f64 v[22:23], v[98:99], v[244:245]
	v_mul_f64 v[28:29], v[90:91], v[232:233]
	s_waitcnt lgkmcnt(0)
	v_mul_f64 v[34:35], v[94:95], v[236:237]
	v_mul_f64 v[20:21], v[86:87], v[242:243]
	v_mul_f64 v[24:25], v[98:99], v[246:247]
	v_mul_f64 v[32:33], v[90:91], v[234:235]
	v_mul_f64 v[36:37], v[94:95], v[238:239]
	v_mul_f64 v[50:51], v[82:83], v[218:219]
	v_mul_f64 v[52:53], v[82:83], v[216:217]
	v_mul_f64 v[60:61], v[78:79], v[12:13]
	v_mul_f64 v[62:63], v[74:75], v[10:11]
	s_mov_b32 s2, 0xe8584caa
	s_mov_b32 s3, 0xbfebb67a
	;; [unrolled: 1-line block ×4, first 2 shown]
	s_waitcnt vmcnt(0)
	s_barrier
	buffer_gl0_inv
	v_fma_f64 v[18:19], v[84:85], v[242:243], -v[18:19]
	v_fma_f64 v[22:23], v[96:97], v[246:247], -v[22:23]
	;; [unrolled: 1-line block ×4, first 2 shown]
	v_fma_f64 v[20:21], v[84:85], v[240:241], v[20:21]
	v_fma_f64 v[24:25], v[96:97], v[244:245], v[24:25]
	;; [unrolled: 1-line block ×5, first 2 shown]
	v_fma_f64 v[52:53], v[80:81], v[218:219], -v[52:53]
	v_add_f64 v[58:59], v[18:19], v[22:23]
	v_add_f64 v[64:65], v[20:21], -v[24:25]
	v_mul_f64 v[38:39], v[44:45], v[230:231]
	v_mul_f64 v[46:47], v[56:57], v[220:221]
	;; [unrolled: 1-line block ×6, first 2 shown]
	v_fma_f64 v[14:15], v[76:77], v[14:15], -v[60:61]
	v_add_f64 v[60:61], v[32:33], v[36:37]
	v_fma_f64 v[38:39], v[42:43], v[228:229], v[38:39]
	v_fma_f64 v[46:47], v[54:55], v[222:223], -v[46:47]
	v_fma_f64 v[48:49], v[54:55], v[220:221], v[48:49]
	v_mul_f64 v[54:55], v[74:75], v[8:9]
	v_fma_f64 v[40:41], v[42:43], v[230:231], -v[40:41]
	v_mul_f64 v[42:43], v[70:71], v[226:227]
	v_fma_f64 v[44:45], v[68:69], v[226:227], -v[44:45]
	v_fma_f64 v[12:13], v[76:77], v[12:13], v[56:57]
	v_add_f64 v[56:57], v[20:21], v[24:25]
	v_fma_f64 v[8:9], v[72:73], v[8:9], v[62:63]
	v_add_f64 v[62:63], v[32:33], -v[36:37]
	v_add_f64 v[76:77], v[18:19], -v[22:23]
	v_add_f64 v[70:71], v[4:5], v[38:39]
	v_fma_f64 v[58:59], v[58:59], -0.5, v[46:47]
	v_add_f64 v[20:21], v[48:49], v[20:21]
	v_fma_f64 v[10:11], v[72:73], v[10:11], -v[54:55]
	v_add_f64 v[54:55], v[28:29], v[34:35]
	v_fma_f64 v[42:43], v[68:69], v[224:225], v[42:43]
	v_add_f64 v[68:69], v[40:41], v[44:45]
	v_add_f64 v[72:73], v[6:7], v[40:41]
	v_fma_f64 v[56:57], v[56:57], -0.5, v[48:49]
	v_add_f64 v[74:75], v[50:51], v[12:13]
	v_add_f64 v[18:19], v[46:47], v[18:19]
	;; [unrolled: 1-line block ×3, first 2 shown]
	v_add_f64 v[46:47], v[28:29], -v[34:35]
	v_fma_f64 v[8:9], v[60:61], -0.5, v[8:9]
	v_add_f64 v[40:41], v[40:41], -v[44:45]
	v_fma_f64 v[48:49], v[64:65], s[4:5], v[58:59]
	v_fma_f64 v[58:59], v[64:65], s[2:3], v[58:59]
	v_add_f64 v[64:65], v[52:53], v[14:15]
	v_fma_f64 v[54:55], v[54:55], -0.5, v[10:11]
	v_add_f64 v[66:67], v[38:39], v[42:43]
	v_add_f64 v[38:39], v[38:39], -v[42:43]
	v_add_f64 v[10:11], v[10:11], v[28:29]
	v_add_f64 v[28:29], v[0:1], v[50:51]
	v_fma_f64 v[6:7], v[68:69], -0.5, v[6:7]
	v_add_f64 v[42:43], v[70:71], v[42:43]
	v_add_f64 v[50:51], v[50:51], -v[12:13]
	v_fma_f64 v[0:1], v[74:75], -0.5, v[0:1]
	v_add_f64 v[44:45], v[72:73], v[44:45]
	v_add_f64 v[20:21], v[20:21], v[24:25]
	;; [unrolled: 1-line block ×3, first 2 shown]
	v_mul_f64 v[68:69], v[48:49], s[2:3]
	v_mul_f64 v[48:49], v[48:49], 0.5
	v_mul_f64 v[70:71], v[58:59], s[2:3]
	v_fma_f64 v[60:61], v[62:63], s[4:5], v[54:55]
	v_fma_f64 v[54:55], v[62:63], s[2:3], v[54:55]
	v_add_f64 v[62:63], v[2:3], v[52:53]
	v_fma_f64 v[4:5], v[66:67], -0.5, v[4:5]
	v_fma_f64 v[66:67], v[76:77], s[2:3], v[56:57]
	v_fma_f64 v[56:57], v[76:77], s[4:5], v[56:57]
	v_mul_f64 v[58:59], v[58:59], -0.5
	v_add_f64 v[52:53], v[52:53], -v[14:15]
	v_fma_f64 v[2:3], v[64:65], -0.5, v[2:3]
	v_fma_f64 v[64:65], v[46:47], s[2:3], v[8:9]
	v_fma_f64 v[8:9], v[46:47], s[4:5], v[8:9]
	v_add_f64 v[22:23], v[28:29], v[12:13]
	v_add_f64 v[28:29], v[32:33], v[36:37]
	;; [unrolled: 1-line block ×3, first 2 shown]
	v_fma_f64 v[74:75], v[38:39], s[2:3], v[6:7]
	v_mul_f64 v[46:47], v[60:61], s[2:3]
	v_mul_f64 v[72:73], v[54:55], s[2:3]
	v_mul_f64 v[54:55], v[54:55], -0.5
	v_add_f64 v[24:25], v[62:63], v[14:15]
	v_fma_f64 v[36:37], v[40:41], s[2:3], v[4:5]
	v_fma_f64 v[62:63], v[38:39], s[4:5], v[6:7]
	v_fma_f64 v[38:39], v[66:67], 0.5, v[68:69]
	v_fma_f64 v[48:49], v[66:67], s[4:5], v[48:49]
	v_fma_f64 v[40:41], v[40:41], s[4:5], v[4:5]
	v_fma_f64 v[68:69], v[56:57], -0.5, v[70:71]
	v_fma_f64 v[56:57], v[56:57], s[4:5], v[58:59]
	v_fma_f64 v[66:67], v[52:53], s[2:3], v[0:1]
	;; [unrolled: 1-line block ×5, first 2 shown]
	v_add_f64 v[3:4], v[42:43], v[20:21]
	v_add_f64 v[5:6], v[44:45], v[18:19]
	;; [unrolled: 1-line block ×3, first 2 shown]
	v_mul_f64 v[60:61], v[60:61], 0.5
	v_add_nc_u32_e32 v2, 0x1e00, v26
	v_fma_f64 v[70:71], v[64:65], 0.5, v[46:47]
	v_fma_f64 v[72:73], v[8:9], -0.5, v[72:73]
	v_fma_f64 v[54:55], v[8:9], s[4:5], v[54:55]
	v_add_f64 v[7:8], v[42:43], -v[20:21]
	v_add_f64 v[9:10], v[44:45], -v[18:19]
	v_add_f64 v[13:14], v[24:25], v[32:33]
	v_add_f64 v[18:19], v[22:23], -v[28:29]
	v_add_f64 v[20:21], v[24:25], -v[32:33]
	v_add_f64 v[22:23], v[36:37], v[38:39]
	v_add_f64 v[24:25], v[62:63], v[48:49]
	;; [unrolled: 1-line block ×4, first 2 shown]
	v_add_f64 v[36:37], v[36:37], -v[38:39]
	v_add_f64 v[38:39], v[62:63], -v[48:49]
	v_add_f64 v[40:41], v[40:41], -v[68:69]
	v_add_f64 v[42:43], v[74:75], -v[56:57]
	ds_write_b128 v27, v[3:6]
	ds_write_b128 v27, v[7:10] offset:480
	ds_write_b128 v27, v[22:25] offset:160
	ds_write_b128 v27, v[32:35] offset:320
	ds_write_b128 v27, v[36:39] offset:640
	ds_write_b128 v27, v[40:43] offset:800
	buffer_load_dword v3, off, s[24:27], 0 offset:232 ; 4-byte Folded Reload
	v_fma_f64 v[60:61], v[64:65], s[4:5], v[60:61]
	v_add_f64 v[44:45], v[66:67], v[70:71]
	v_add_f64 v[56:57], v[0:1], v[72:73]
	;; [unrolled: 1-line block ×3, first 2 shown]
	v_add_f64 v[64:65], v[66:67], -v[70:71]
	v_add_f64 v[68:69], v[0:1], -v[72:73]
	;; [unrolled: 1-line block ×3, first 2 shown]
	v_add_nc_u32_e32 v1, 0x2d00, v26
	v_add_nc_u32_e32 v0, 0x3480, v26
	v_add_f64 v[46:47], v[52:53], v[60:61]
	v_add_f64 v[66:67], v[52:53], -v[60:61]
	s_waitcnt vmcnt(0)
	ds_write_b128 v3, v[11:14]
	ds_write_b128 v3, v[44:47] offset:160
	ds_write_b128 v3, v[56:59] offset:320
	;; [unrolled: 1-line block ×5, first 2 shown]
	s_and_saveexec_b32 s1, s0
	s_cbranch_execz .LBB0_21
; %bb.20:
	s_clause 0x14
	buffer_load_dword v22, off, s[24:27], 0 offset:300
	buffer_load_dword v23, off, s[24:27], 0 offset:304
	;; [unrolled: 1-line block ×21, first 2 shown]
	s_waitcnt vmcnt(17)
	v_mul_f64 v[3:4], v[24:25], v[208:209]
	s_waitcnt vmcnt(13)
	v_mul_f64 v[5:6], v[29:30], v[124:125]
	v_mul_f64 v[7:8], v[24:25], v[210:211]
	;; [unrolled: 1-line block ×3, first 2 shown]
	s_waitcnt vmcnt(9)
	v_mul_f64 v[11:12], v[40:41], v[200:201]
	s_waitcnt vmcnt(5)
	v_mul_f64 v[13:14], v[36:37], v[204:205]
	s_waitcnt vmcnt(1)
	v_mul_f64 v[18:19], v[44:45], v[212:213]
	v_mul_f64 v[20:21], v[40:41], v[202:203]
	v_mul_f64 v[24:25], v[36:37], v[206:207]
	v_fma_f64 v[3:4], v[22:23], v[210:211], -v[3:4]
	v_fma_f64 v[5:6], v[27:28], v[126:127], -v[5:6]
	v_fma_f64 v[7:8], v[22:23], v[208:209], v[7:8]
	v_fma_f64 v[9:10], v[27:28], v[124:125], v[9:10]
	v_fma_f64 v[11:12], v[38:39], v[202:203], -v[11:12]
	v_mul_f64 v[27:28], v[44:45], v[214:215]
	v_fma_f64 v[13:14], v[34:35], v[206:207], -v[13:14]
	v_fma_f64 v[18:19], v[42:43], v[214:215], -v[18:19]
	v_fma_f64 v[20:21], v[38:39], v[200:201], v[20:21]
	v_fma_f64 v[24:25], v[34:35], v[204:205], v[24:25]
	v_add_f64 v[22:23], v[3:4], v[5:6]
	v_add_f64 v[36:37], v[3:4], -v[5:6]
	v_add_f64 v[29:30], v[7:8], v[9:10]
	v_add_f64 v[32:33], v[7:8], -v[9:10]
	v_fma_f64 v[27:28], v[42:43], v[212:213], v[27:28]
	v_add_f64 v[42:43], v[13:14], v[102:103]
	v_add_f64 v[34:35], v[18:19], v[13:14]
	;; [unrolled: 1-line block ×4, first 2 shown]
	v_fma_f64 v[22:23], v[22:23], -0.5, v[11:12]
	v_add_f64 v[11:12], v[13:14], -v[18:19]
	v_fma_f64 v[29:30], v[29:30], -0.5, v[20:21]
	v_add_f64 v[13:14], v[24:25], v[100:101]
	v_add_f64 v[40:41], v[24:25], -v[27:28]
	v_add_f64 v[18:19], v[18:19], v[42:43]
	v_fma_f64 v[20:21], v[34:35], -0.5, v[102:103]
	v_add_f64 v[42:43], v[5:6], v[3:4]
	v_add_f64 v[7:8], v[9:10], v[7:8]
	v_fma_f64 v[38:39], v[32:33], s[2:3], v[22:23]
	v_fma_f64 v[22:23], v[32:33], s[4:5], v[22:23]
	v_add_f64 v[32:33], v[27:28], v[24:25]
	v_fma_f64 v[24:25], v[36:37], s[4:5], v[29:30]
	v_add_f64 v[13:14], v[27:28], v[13:14]
	v_fma_f64 v[29:30], v[36:37], s[2:3], v[29:30]
	v_fma_f64 v[27:28], v[40:41], s[2:3], v[20:21]
	;; [unrolled: 1-line block ×3, first 2 shown]
	v_add_f64 v[9:10], v[18:19], v[42:43]
	v_add_f64 v[5:6], v[18:19], -v[42:43]
	v_mul_f64 v[34:35], v[38:39], -0.5
	v_mul_f64 v[38:39], v[38:39], s[2:3]
	v_mul_f64 v[36:37], v[22:23], 0.5
	v_fma_f64 v[32:33], v[32:33], -0.5, v[100:101]
	v_add_f64 v[3:4], v[13:14], -v[7:8]
	v_add_f64 v[7:8], v[13:14], v[7:8]
	v_mul_f64 v[22:23], v[22:23], s[2:3]
	v_fma_f64 v[34:35], v[24:25], s[4:5], v[34:35]
	v_fma_f64 v[38:39], v[24:25], -0.5, v[38:39]
	v_fma_f64 v[36:37], v[29:30], s[4:5], v[36:37]
	v_fma_f64 v[44:45], v[11:12], s[4:5], v[32:33]
	v_fma_f64 v[11:12], v[11:12], s[2:3], v[32:33]
	v_fma_f64 v[29:30], v[29:30], 0.5, v[22:23]
	v_add_f64 v[13:14], v[27:28], -v[34:35]
	v_add_f64 v[24:25], v[27:28], v[34:35]
	buffer_load_dword v27, off, s[24:27], 0 offset:8 ; 4-byte Folded Reload
	v_add_f64 v[34:35], v[40:41], v[36:37]
	v_add_f64 v[22:23], v[44:45], v[38:39]
	v_add_f64 v[20:21], v[40:41], -v[36:37]
	v_add_f64 v[32:33], v[11:12], v[29:30]
	v_add_f64 v[18:19], v[11:12], -v[29:30]
	v_add_f64 v[11:12], v[44:45], -v[38:39]
	s_waitcnt vmcnt(1)
	v_and_b32_e32 v15, 0xffff, v15
	s_waitcnt vmcnt(0)
	v_add_lshl_u32 v15, v27, v15, 4
	ds_write_b128 v15, v[7:10]
	ds_write_b128 v15, v[3:6] offset:480
	ds_write_b128 v15, v[32:35] offset:160
	;; [unrolled: 1-line block ×5, first 2 shown]
.LBB0_21:
	s_or_b32 exec_lo, exec_lo, s1
	s_waitcnt lgkmcnt(0)
	s_barrier
	buffer_gl0_inv
	ds_read_b128 v[3:6], v26 offset:1920
	ds_read_b128 v[7:10], v26 offset:3840
	;; [unrolled: 1-line block ×5, first 2 shown]
	buffer_load_dword v124, off, s[24:27], 0 ; 4-byte Folded Reload
	s_mov_b32 s0, 0x667f3bcd
	s_mov_b32 s1, 0xbfe6a09e
	;; [unrolled: 1-line block ×12, first 2 shown]
	s_waitcnt vmcnt(0)
	ds_read_b128 v[32:35], v124
	ds_read_b128 v[36:39], v26 offset:11520
	ds_read_b128 v[40:43], v26 offset:13440
	;; [unrolled: 1-line block ×6, first 2 shown]
	s_waitcnt lgkmcnt(11)
	v_mul_f64 v[27:28], v[118:119], v[5:6]
	v_mul_f64 v[29:30], v[118:119], v[3:4]
	ds_read_b128 v[60:63], v26 offset:21120
	ds_read_b128 v[64:67], v26 offset:24960
	ds_read_b128 v[68:71], v26 offset:26880
	ds_read_b128 v[72:75], v26 offset:28800
	s_waitcnt lgkmcnt(14)
	v_mul_f64 v[76:77], v[114:115], v[9:10]
	v_mul_f64 v[78:79], v[114:115], v[7:8]
	s_waitcnt lgkmcnt(13)
	v_mul_f64 v[80:81], v[110:111], v[13:14]
	v_mul_f64 v[82:83], v[110:111], v[11:12]
	;; [unrolled: 3-line block ×3, first 2 shown]
	v_mul_f64 v[84:85], v[106:107], v[20:21]
	v_mul_f64 v[86:87], v[106:107], v[18:19]
	s_waitcnt lgkmcnt(0)
	s_barrier
	buffer_gl0_inv
	v_mul_f64 v[92:93], v[130:131], v[38:39]
	v_mul_f64 v[94:95], v[130:131], v[36:37]
	;; [unrolled: 1-line block ×8, first 2 shown]
	v_fma_f64 v[3:4], v[116:117], v[3:4], v[27:28]
	v_fma_f64 v[5:6], v[116:117], v[5:6], -v[29:30]
	v_mul_f64 v[27:28], v[166:167], v[70:71]
	v_mul_f64 v[29:30], v[166:167], v[68:69]
	v_fma_f64 v[7:8], v[112:113], v[7:8], v[76:77]
	v_fma_f64 v[9:10], v[112:113], v[9:10], -v[78:79]
	v_fma_f64 v[11:12], v[108:109], v[11:12], v[80:81]
	v_fma_f64 v[13:14], v[108:109], v[13:14], -v[82:83]
	v_mul_f64 v[76:77], v[142:143], v[50:51]
	v_mul_f64 v[78:79], v[142:143], v[48:49]
	;; [unrolled: 1-line block ×4, first 2 shown]
	v_fma_f64 v[22:23], v[120:121], v[22:23], v[88:89]
	v_fma_f64 v[24:25], v[120:121], v[24:25], -v[90:91]
	v_mul_f64 v[88:89], v[150:151], v[62:63]
	v_mul_f64 v[90:91], v[150:151], v[60:61]
	v_fma_f64 v[36:37], v[128:129], v[36:37], v[92:93]
	v_fma_f64 v[38:39], v[128:129], v[38:39], -v[94:95]
	v_mul_f64 v[92:93], v[134:135], v[42:43]
	v_mul_f64 v[94:95], v[134:135], v[40:41]
	;; [unrolled: 1-line block ×4, first 2 shown]
	v_fma_f64 v[44:45], v[136:137], v[44:45], v[96:97]
	v_fma_f64 v[46:47], v[136:137], v[46:47], -v[98:99]
	v_fma_f64 v[56:57], v[152:153], v[56:57], v[106:107]
	v_fma_f64 v[58:59], v[152:153], v[58:59], -v[110:111]
	;; [unrolled: 2-line block ×9, first 2 shown]
	v_fma_f64 v[68:69], v[160:161], v[74:75], -v[108:109]
	v_fma_f64 v[70:71], v[160:161], v[72:73], v[112:113]
	v_add_f64 v[44:45], v[32:33], -v[44:45]
	v_add_f64 v[46:47], v[34:35], -v[46:47]
	;; [unrolled: 1-line block ×16, first 2 shown]
	v_fma_f64 v[32:33], v[32:33], 2.0, -v[44:45]
	v_fma_f64 v[34:35], v[34:35], 2.0, -v[46:47]
	;; [unrolled: 1-line block ×8, first 2 shown]
	v_add_f64 v[58:59], v[44:45], v[58:59]
	v_add_f64 v[56:57], v[46:47], -v[56:57]
	v_fma_f64 v[22:23], v[22:23], 2.0, -v[64:65]
	v_fma_f64 v[24:25], v[24:25], 2.0, -v[66:67]
	v_add_f64 v[29:30], v[52:53], v[29:30]
	v_add_f64 v[27:28], v[54:55], -v[27:28]
	v_add_f64 v[66:67], v[48:49], v[66:67]
	v_add_f64 v[64:65], v[50:51], -v[64:65]
	v_fma_f64 v[3:4], v[3:4], 2.0, -v[48:49]
	v_fma_f64 v[5:6], v[5:6], 2.0, -v[50:51]
	;; [unrolled: 1-line block ×4, first 2 shown]
	v_add_f64 v[72:73], v[60:61], v[68:69]
	v_add_f64 v[74:75], v[62:63], -v[70:71]
	v_fma_f64 v[40:41], v[40:41], 2.0, -v[70:71]
	v_fma_f64 v[42:43], v[42:43], 2.0, -v[68:69]
	v_add_f64 v[11:12], v[32:33], -v[11:12]
	v_add_f64 v[13:14], v[34:35], -v[13:14]
	;; [unrolled: 1-line block ×4, first 2 shown]
	v_fma_f64 v[44:45], v[44:45], 2.0, -v[58:59]
	v_fma_f64 v[46:47], v[46:47], 2.0, -v[56:57]
	;; [unrolled: 1-line block ×6, first 2 shown]
	v_add_f64 v[22:23], v[3:4], -v[22:23]
	v_add_f64 v[24:25], v[5:6], -v[24:25]
	v_fma_f64 v[68:69], v[29:30], s[2:3], v[58:59]
	v_fma_f64 v[70:71], v[27:28], s[2:3], v[56:57]
	v_fma_f64 v[60:61], v[60:61], 2.0, -v[72:73]
	v_fma_f64 v[62:63], v[62:63], 2.0, -v[74:75]
	v_add_f64 v[40:41], v[18:19], -v[40:41]
	v_add_f64 v[42:43], v[20:21], -v[42:43]
	v_fma_f64 v[32:33], v[32:33], 2.0, -v[11:12]
	v_fma_f64 v[34:35], v[34:35], 2.0, -v[13:14]
	v_fma_f64 v[76:77], v[72:73], s[2:3], v[66:67]
	v_fma_f64 v[78:79], v[74:75], s[2:3], v[64:65]
	v_fma_f64 v[7:8], v[7:8], 2.0, -v[36:37]
	v_fma_f64 v[9:10], v[9:10], 2.0, -v[38:39]
	v_add_f64 v[88:89], v[11:12], v[38:39]
	v_add_f64 v[90:91], v[13:14], -v[36:37]
	v_fma_f64 v[80:81], v[52:53], s[0:1], v[44:45]
	v_fma_f64 v[82:83], v[54:55], s[0:1], v[46:47]
	v_fma_f64 v[3:4], v[3:4], 2.0, -v[22:23]
	v_fma_f64 v[5:6], v[5:6], 2.0, -v[24:25]
	v_fma_f64 v[27:28], v[27:28], s[2:3], v[68:69]
	v_fma_f64 v[29:30], v[29:30], s[0:1], v[70:71]
	;; [unrolled: 1-line block ×4, first 2 shown]
	v_fma_f64 v[18:19], v[18:19], 2.0, -v[40:41]
	v_fma_f64 v[20:21], v[20:21], 2.0, -v[42:43]
	v_fma_f64 v[36:37], v[74:75], s[2:3], v[76:77]
	v_fma_f64 v[38:39], v[72:73], s[0:1], v[78:79]
	v_add_f64 v[92:93], v[32:33], -v[7:8]
	v_add_f64 v[94:95], v[34:35], -v[9:10]
	v_add_f64 v[9:10], v[22:23], v[42:43]
	v_add_f64 v[7:8], v[24:25], -v[40:41]
	v_fma_f64 v[68:69], v[54:55], s[2:3], v[80:81]
	v_fma_f64 v[70:71], v[52:53], s[0:1], v[82:83]
	v_fma_f64 v[76:77], v[58:59], 2.0, -v[27:28]
	v_fma_f64 v[78:79], v[56:57], 2.0, -v[29:30]
	v_fma_f64 v[40:41], v[62:63], s[2:3], v[84:85]
	v_fma_f64 v[42:43], v[60:61], s[0:1], v[86:87]
	v_add_f64 v[18:19], v[3:4], -v[18:19]
	v_add_f64 v[20:21], v[5:6], -v[20:21]
	v_fma_f64 v[60:61], v[11:12], 2.0, -v[88:89]
	v_fma_f64 v[62:63], v[13:14], 2.0, -v[90:91]
	;; [unrolled: 1-line block ×8, first 2 shown]
	v_fma_f64 v[11:12], v[9:10], s[2:3], v[88:89]
	v_fma_f64 v[80:81], v[44:45], 2.0, -v[68:69]
	v_fma_f64 v[82:83], v[46:47], 2.0, -v[70:71]
	v_fma_f64 v[13:14], v[7:8], s[2:3], v[90:91]
	v_fma_f64 v[54:55], v[38:39], s[14:15], v[29:30]
	v_fma_f64 v[44:45], v[48:49], 2.0, -v[40:41]
	v_fma_f64 v[46:47], v[50:51], 2.0, -v[42:43]
	v_fma_f64 v[50:51], v[36:37], s[14:15], v[27:28]
	v_fma_f64 v[24:25], v[3:4], 2.0, -v[18:19]
	v_fma_f64 v[48:49], v[5:6], 2.0, -v[20:21]
	v_fma_f64 v[84:85], v[40:41], s[12:13], v[68:69]
	v_fma_f64 v[86:87], v[42:43], s[12:13], v[70:71]
	;; [unrolled: 1-line block ×3, first 2 shown]
	v_add_f64 v[3:4], v[92:93], v[20:21]
	v_add_f64 v[5:6], v[94:95], -v[18:19]
	v_fma_f64 v[56:57], v[32:33], s[0:1], v[60:61]
	v_fma_f64 v[58:59], v[22:23], s[0:1], v[62:63]
	;; [unrolled: 1-line block ×9, first 2 shown]
	v_add_f64 v[18:19], v[72:73], -v[24:25]
	v_add_f64 v[20:21], v[74:75], -v[48:49]
	v_fma_f64 v[36:37], v[42:43], s[14:15], v[84:85]
	v_fma_f64 v[38:39], v[40:41], s[4:5], v[86:87]
	;; [unrolled: 1-line block ×3, first 2 shown]
	s_mul_hi_u32 s4, s8, 0xc0
	v_fma_f64 v[22:23], v[22:23], s[2:3], v[56:57]
	v_fma_f64 v[24:25], v[32:33], s[0:1], v[58:59]
	;; [unrolled: 1-line block ×3, first 2 shown]
	v_fma_f64 v[48:49], v[88:89], 2.0, -v[7:8]
	s_mov_b32 s2, 0x11111111
	s_mov_b32 s3, 0x3f411111
	v_fma_f64 v[50:51], v[90:91], 2.0, -v[9:10]
	v_fma_f64 v[54:55], v[29:30], 2.0, -v[13:14]
	s_mul_i32 s1, s9, 0xc0
	s_mul_i32 s0, s8, 0xc0
	s_add_i32 s1, s4, s1
	v_fma_f64 v[40:41], v[46:47], s[12:13], v[96:97]
	v_fma_f64 v[42:43], v[44:45], s[16:17], v[98:99]
	v_fma_f64 v[44:45], v[92:93], 2.0, -v[3:4]
	v_fma_f64 v[46:47], v[94:95], 2.0, -v[5:6]
	v_fma_f64 v[52:53], v[27:28], 2.0, -v[11:12]
	v_fma_f64 v[56:57], v[72:73], 2.0, -v[18:19]
	v_fma_f64 v[58:59], v[74:75], 2.0, -v[20:21]
	v_fma_f64 v[66:67], v[78:79], 2.0, -v[34:35]
	v_fma_f64 v[68:69], v[68:69], 2.0, -v[36:37]
	v_fma_f64 v[70:71], v[70:71], 2.0, -v[38:39]
	v_fma_f64 v[60:61], v[60:61], 2.0, -v[22:23]
	v_fma_f64 v[62:63], v[62:63], 2.0, -v[24:25]
	v_fma_f64 v[64:65], v[76:77], 2.0, -v[32:33]
	s_lshl_b64 s[4:5], s[0:1], 4
	s_mul_i32 s1, s8, 0x1800
	v_fma_f64 v[72:73], v[80:81], 2.0, -v[40:41]
	v_fma_f64 v[74:75], v[82:83], 2.0, -v[42:43]
	ds_write_b128 v31, v[3:6] offset:11520
	ds_write_b128 v31, v[7:10] offset:13440
	;; [unrolled: 1-line block ×10, first 2 shown]
	ds_write_b128 v31, v[56:59]
	ds_write_b128 v31, v[60:63] offset:1920
	ds_write_b128 v31, v[64:67] offset:2880
	;; [unrolled: 1-line block ×5, first 2 shown]
	s_waitcnt lgkmcnt(0)
	s_barrier
	buffer_gl0_inv
	ds_read_b128 v[3:6], v26 offset:15360
	ds_read_b128 v[7:10], v26 offset:17280
	;; [unrolled: 1-line block ×8, first 2 shown]
	ds_read_b128 v[40:43], v124
	ds_read_b128 v[44:47], v26 offset:1920
	ds_read_b128 v[48:51], v26 offset:3840
	ds_read_b128 v[52:55], v26 offset:5760
	ds_read_b128 v[56:59], v26 offset:7680
	ds_read_b128 v[60:63], v26 offset:9600
	s_waitcnt lgkmcnt(13)
	v_mul_f64 v[64:65], v[174:175], v[5:6]
	v_mul_f64 v[66:67], v[174:175], v[3:4]
	s_waitcnt lgkmcnt(12)
	v_mul_f64 v[68:69], v[170:171], v[9:10]
	v_mul_f64 v[70:71], v[170:171], v[7:8]
	;; [unrolled: 3-line block ×8, first 2 shown]
	v_fma_f64 v[64:65], v[172:173], v[3:4], v[64:65]
	v_fma_f64 v[66:67], v[172:173], v[5:6], -v[66:67]
	v_fma_f64 v[68:69], v[168:169], v[7:8], v[68:69]
	v_fma_f64 v[70:71], v[168:169], v[9:10], -v[70:71]
	;; [unrolled: 2-line block ×7, first 2 shown]
	v_fma_f64 v[92:93], v[196:197], v[36:37], v[92:93]
	ds_read_b128 v[3:6], v26 offset:11520
	ds_read_b128 v[7:10], v26 offset:13440
	v_fma_f64 v[94:95], v[196:197], v[38:39], -v[94:95]
	s_waitcnt lgkmcnt(7)
	v_add_f64 v[11:12], v[40:41], -v[64:65]
	v_add_f64 v[13:14], v[42:43], -v[66:67]
	s_waitcnt lgkmcnt(6)
	v_add_f64 v[18:19], v[44:45], -v[68:69]
	v_add_f64 v[20:21], v[46:47], -v[70:71]
	;; [unrolled: 3-line block ×6, first 2 shown]
	s_clause 0x1
	buffer_load_dword v72, off, s[24:27], 0 offset:12
	buffer_load_dword v73, off, s[24:27], 0 offset:16
	s_waitcnt lgkmcnt(1)
	v_add_f64 v[64:65], v[3:4], -v[88:89]
	v_add_f64 v[66:67], v[5:6], -v[90:91]
	s_waitcnt lgkmcnt(0)
	v_add_f64 v[68:69], v[7:8], -v[92:93]
	v_add_f64 v[70:71], v[9:10], -v[94:95]
	v_fma_f64 v[40:41], v[40:41], 2.0, -v[11:12]
	v_fma_f64 v[42:43], v[42:43], 2.0, -v[13:14]
	;; [unrolled: 1-line block ×16, first 2 shown]
	ds_write_b128 v124, v[40:43]
	ds_write_b128 v26, v[11:14] offset:15360
	ds_write_b128 v26, v[44:47] offset:1920
	;; [unrolled: 1-line block ×15, first 2 shown]
	s_waitcnt vmcnt(0) lgkmcnt(0)
	s_barrier
	buffer_gl0_inv
	ds_read_b128 v[0:3], v124
	ds_read_b128 v[4:7], v26 offset:3072
	ds_read_b128 v[8:11], v26 offset:6144
	s_clause 0x2
	buffer_load_dword v22, off, s[24:27], 0 offset:4
	buffer_load_dword v23, off, s[24:27], 0 offset:24
	buffer_load_dword v50, off, s[24:27], 0 offset:28
	ds_read_b128 v[12:15], v26 offset:9216
	s_clause 0x3
	buffer_load_dword v51, off, s[24:27], 0 offset:84
	buffer_load_dword v52, off, s[24:27], 0 offset:88
	;; [unrolled: 1-line block ×4, first 2 shown]
	v_mov_b32_e32 v74, v72
	v_mad_u64_u32 v[72:73], null, s10, v74, 0
	s_mul_i32 s10, s9, 0x1800
	v_mov_b32_e32 v18, v73
	s_waitcnt vmcnt(6)
	v_mad_u64_u32 v[27:28], null, s8, v22, 0
	s_waitcnt vmcnt(5)
	v_mad_u64_u32 v[29:30], null, s8, v23, 0
	s_waitcnt vmcnt(0) lgkmcnt(3)
	v_mul_f64 v[31:32], v[53:54], v[2:3]
	v_mul_f64 v[33:34], v[53:54], v[0:1]
	s_clause 0x7
	buffer_load_dword v53, off, s[24:27], 0 offset:100
	buffer_load_dword v54, off, s[24:27], 0 offset:104
	;; [unrolled: 1-line block ×8, first 2 shown]
	v_mov_b32_e32 v19, v28
	v_mad_u64_u32 v[39:40], null, s8, v50, 0
	v_mad_u64_u32 v[20:21], null, s11, v74, v[18:19]
	s_mul_hi_u32 s11, s8, 0x1800
	s_add_i32 s11, s11, s10
	v_mad_u64_u32 v[18:19], null, s9, v22, v[19:20]
	v_mov_b32_e32 v19, v30
	v_mov_b32_e32 v73, v20
	v_fma_f64 v[0:1], v[51:52], v[0:1], v[31:32]
	v_fma_f64 v[2:3], v[51:52], v[2:3], -v[33:34]
	v_mad_u64_u32 v[45:46], null, s9, v23, v[19:20]
	v_mov_b32_e32 v28, v18
	ds_read_b128 v[18:21], v26 offset:12288
	ds_read_b128 v[22:25], v26 offset:15360
	v_lshlrev_b64 v[31:32], 4, v[72:73]
	v_lshlrev_b64 v[27:28], 4, v[27:28]
	v_mov_b32_e32 v30, v45
	v_lshlrev_b64 v[29:30], 4, v[29:30]
	v_mul_f64 v[0:1], v[0:1], s[2:3]
	v_mul_f64 v[2:3], v[2:3], s[2:3]
	s_waitcnt vmcnt(4) lgkmcnt(4)
	v_mul_f64 v[35:36], v[55:56], v[6:7]
	v_mul_f64 v[37:38], v[55:56], v[4:5]
	s_waitcnt vmcnt(0) lgkmcnt(3)
	v_mul_f64 v[41:42], v[61:62], v[10:11]
	v_mul_f64 v[43:44], v[61:62], v[8:9]
	s_clause 0x7
	buffer_load_dword v55, off, s[24:27], 0 offset:164
	buffer_load_dword v56, off, s[24:27], 0 offset:168
	buffer_load_dword v57, off, s[24:27], 0 offset:172
	buffer_load_dword v58, off, s[24:27], 0 offset:176
	buffer_load_dword v62, off, s[24:27], 0 offset:52
	buffer_load_dword v63, off, s[24:27], 0 offset:56
	buffer_load_dword v64, off, s[24:27], 0 offset:60
	buffer_load_dword v65, off, s[24:27], 0 offset:64
	v_fma_f64 v[4:5], v[53:54], v[4:5], v[35:36]
	v_fma_f64 v[6:7], v[53:54], v[6:7], -v[37:38]
	v_fma_f64 v[8:9], v[59:60], v[8:9], v[41:42]
	v_mad_u64_u32 v[40:41], null, s9, v50, v[40:41]
	v_fma_f64 v[10:11], v[59:60], v[10:11], -v[43:44]
	v_add_co_u32 v60, s0, s6, v31
	v_add_co_ci_u32_e64 v61, s0, s7, v32, s0
	v_add_co_u32 v54, s0, v60, v27
	v_lshlrev_b64 v[39:40], 4, v[39:40]
	v_mul_f64 v[4:5], v[4:5], s[2:3]
	v_mul_f64 v[6:7], v[6:7], s[2:3]
	;; [unrolled: 1-line block ×4, first 2 shown]
	s_waitcnt vmcnt(4) lgkmcnt(2)
	v_mul_f64 v[46:47], v[57:58], v[14:15]
	s_waitcnt vmcnt(0) lgkmcnt(1)
	v_mul_f64 v[41:42], v[64:65], v[20:21]
	v_mul_f64 v[43:44], v[64:65], v[18:19]
	s_clause 0x3
	buffer_load_dword v64, off, s[24:27], 0 offset:68
	buffer_load_dword v65, off, s[24:27], 0 offset:72
	buffer_load_dword v66, off, s[24:27], 0 offset:76
	buffer_load_dword v67, off, s[24:27], 0 offset:80
	v_mul_f64 v[48:49], v[57:58], v[12:13]
	v_fma_f64 v[45:46], v[55:56], v[12:13], v[46:47]
	v_fma_f64 v[41:42], v[62:63], v[18:19], v[41:42]
	v_fma_f64 v[43:44], v[62:63], v[20:21], -v[43:44]
	v_fma_f64 v[47:48], v[55:56], v[14:15], -v[48:49]
	v_add_co_ci_u32_e64 v55, s0, v61, v28, s0
	v_add_co_u32 v56, s0, v60, v29
	v_add_co_ci_u32_e64 v57, s0, v61, v30, s0
	v_add_co_u32 v58, s0, v54, s4
	v_add_co_ci_u32_e64 v59, s0, s5, v55, s0
	ds_read_b128 v[12:15], v26 offset:18432
	ds_read_b128 v[27:30], v26 offset:21504
	;; [unrolled: 1-line block ×4, first 2 shown]
	global_store_dwordx4 v[54:55], v[0:3], off
	global_store_dwordx4 v[58:59], v[4:7], off
	global_store_dwordx4 v[56:57], v[8:11], off
	v_mul_f64 v[18:19], v[45:46], s[2:3]
	v_mul_f64 v[0:1], v[41:42], s[2:3]
	;; [unrolled: 1-line block ×4, first 2 shown]
	s_waitcnt vmcnt(0) lgkmcnt(4)
	v_mul_f64 v[50:51], v[66:67], v[24:25]
	v_mul_f64 v[52:53], v[66:67], v[22:23]
	v_fma_f64 v[4:5], v[64:65], v[22:23], v[50:51]
	v_fma_f64 v[6:7], v[64:65], v[24:25], -v[52:53]
	s_clause 0x7
	buffer_load_dword v62, off, s[24:27], 0 offset:36
	buffer_load_dword v63, off, s[24:27], 0 offset:40
	;; [unrolled: 1-line block ×8, first 2 shown]
	v_add_co_u32 v22, s0, v58, s1
	v_add_co_ci_u32_e64 v23, s0, s11, v59, s0
	v_add_co_u32 v39, s0, v60, v39
	v_add_co_ci_u32_e64 v40, s0, v61, v40, s0
	v_mul_f64 v[4:5], v[4:5], s[2:3]
	v_mul_f64 v[6:7], v[6:7], s[2:3]
	s_waitcnt vmcnt(4) lgkmcnt(3)
	v_mul_f64 v[8:9], v[64:65], v[14:15]
	v_mul_f64 v[10:11], v[64:65], v[12:13]
	s_clause 0x4
	buffer_load_dword v64, off, s[24:27], 0 offset:116
	buffer_load_dword v65, off, s[24:27], 0 offset:120
	;; [unrolled: 1-line block ×5, first 2 shown]
	s_waitcnt vmcnt(5) lgkmcnt(2)
	v_mul_f64 v[24:25], v[72:73], v[29:30]
	v_mul_f64 v[45:46], v[72:73], v[27:28]
	v_fma_f64 v[8:9], v[62:63], v[12:13], v[8:9]
	v_fma_f64 v[10:11], v[62:63], v[14:15], -v[10:11]
	s_waitcnt vmcnt(1) lgkmcnt(1)
	v_mul_f64 v[47:48], v[66:67], v[33:34]
	v_mul_f64 v[49:50], v[66:67], v[31:32]
	s_clause 0x4
	buffer_load_dword v66, off, s[24:27], 0 offset:132
	buffer_load_dword v67, off, s[24:27], 0 offset:136
	;; [unrolled: 1-line block ×5, first 2 shown]
	s_waitcnt vmcnt(5)
	v_mad_u64_u32 v[51:52], null, s8, v57, 0
	global_store_dwordx4 v[22:23], v[18:21], off
	global_store_dwordx4 v[39:40], v[0:3], off
	v_mul_f64 v[2:3], v[8:9], s[2:3]
	v_mov_b32_e32 v12, v52
	v_mad_u64_u32 v[12:13], null, s9, v57, v[12:13]
	v_fma_f64 v[13:14], v[70:71], v[27:28], v[24:25]
	v_fma_f64 v[24:25], v[70:71], v[29:30], -v[45:46]
	v_fma_f64 v[27:28], v[64:65], v[31:32], v[47:48]
	v_fma_f64 v[29:30], v[64:65], v[33:34], -v[49:50]
	v_mov_b32_e32 v52, v12
	v_mul_f64 v[8:9], v[24:25], s[2:3]
	s_waitcnt vmcnt(1) lgkmcnt(0)
	v_mul_f64 v[53:54], v[68:69], v[37:38]
	v_mul_f64 v[55:56], v[68:69], v[35:36]
	s_waitcnt vmcnt(0)
	v_mad_u64_u32 v[31:32], null, s8, v41, 0
	v_mov_b32_e32 v0, v32
	v_mad_u64_u32 v[0:1], null, s9, v41, v[0:1]
	v_fma_f64 v[33:34], v[66:67], v[35:36], v[53:54]
	v_fma_f64 v[35:36], v[66:67], v[37:38], -v[55:56]
	v_add_co_u32 v37, s0, v22, s1
	v_add_co_ci_u32_e64 v38, s0, s11, v23, s0
	v_lshlrev_b64 v[22:23], 4, v[51:52]
	v_mov_b32_e32 v32, v0
	global_store_dwordx4 v[37:38], v[4:7], off
	v_mul_f64 v[4:5], v[10:11], s[2:3]
	v_mul_f64 v[6:7], v[13:14], s[2:3]
	;; [unrolled: 1-line block ×4, first 2 shown]
	v_add_co_u32 v14, s0, v60, v22
	v_lshlrev_b64 v[0:1], 4, v[31:32]
	v_add_co_ci_u32_e64 v15, s0, v61, v23, s0
	v_add_co_u32 v22, s0, v37, s1
	v_add_co_ci_u32_e64 v23, s0, s11, v38, s0
	v_mul_f64 v[18:19], v[33:34], s[2:3]
	v_mul_f64 v[20:21], v[35:36], s[2:3]
	v_add_co_u32 v24, s0, v60, v0
	v_add_co_ci_u32_e64 v25, s0, v61, v1, s0
	v_add_co_u32 v0, s0, v22, s1
	v_add_co_ci_u32_e64 v1, s0, s11, v23, s0
	global_store_dwordx4 v[14:15], v[2:5], off
	global_store_dwordx4 v[22:23], v[6:9], off
	;; [unrolled: 1-line block ×4, first 2 shown]
	s_and_b32 exec_lo, exec_lo, vcc_lo
	s_cbranch_execz .LBB0_23
; %bb.22:
	global_load_dwordx4 v[2:5], v[16:17], off offset:1920
	ds_read_b128 v[6:9], v26 offset:1920
	ds_read_b128 v[10:13], v26 offset:4992
	s_mul_i32 s0, s9, 0xffff9b80
	s_sub_i32 s0, s0, s8
	s_waitcnt vmcnt(0) lgkmcnt(1)
	v_mul_f64 v[14:15], v[8:9], v[4:5]
	v_mul_f64 v[4:5], v[6:7], v[4:5]
	v_fma_f64 v[6:7], v[6:7], v[2:3], v[14:15]
	v_fma_f64 v[4:5], v[2:3], v[8:9], -v[4:5]
	v_mul_f64 v[2:3], v[6:7], s[2:3]
	v_mul_f64 v[4:5], v[4:5], s[2:3]
	v_mad_u64_u32 v[6:7], null, 0xffff9b80, s8, v[0:1]
	v_add_co_u32 v0, vcc_lo, 0x1000, v16
	v_add_co_ci_u32_e32 v1, vcc_lo, 0, v17, vcc_lo
	v_add_nc_u32_e32 v7, s0, v7
	global_store_dwordx4 v[6:7], v[2:5], off
	global_load_dwordx4 v[0:3], v[0:1], off offset:896
	s_waitcnt vmcnt(0) lgkmcnt(0)
	v_mul_f64 v[4:5], v[12:13], v[2:3]
	v_mul_f64 v[2:3], v[10:11], v[2:3]
	v_fma_f64 v[4:5], v[10:11], v[0:1], v[4:5]
	v_fma_f64 v[2:3], v[0:1], v[12:13], -v[2:3]
	v_add_co_u32 v12, vcc_lo, v6, s4
	v_add_co_ci_u32_e32 v13, vcc_lo, s5, v7, vcc_lo
	v_mul_f64 v[0:1], v[4:5], s[2:3]
	v_mul_f64 v[2:3], v[2:3], s[2:3]
	v_add_co_u32 v4, vcc_lo, 0x1800, v16
	v_add_co_ci_u32_e32 v5, vcc_lo, 0, v17, vcc_lo
	global_store_dwordx4 v[12:13], v[0:3], off
	global_load_dwordx4 v[0:3], v[4:5], off offset:1920
	ds_read_b128 v[4:7], v26 offset:8064
	ds_read_b128 v[8:11], v26 offset:11136
	s_waitcnt vmcnt(0) lgkmcnt(1)
	v_mul_f64 v[14:15], v[6:7], v[2:3]
	v_mul_f64 v[2:3], v[4:5], v[2:3]
	v_fma_f64 v[4:5], v[4:5], v[0:1], v[14:15]
	v_fma_f64 v[2:3], v[0:1], v[6:7], -v[2:3]
	v_mul_f64 v[0:1], v[4:5], s[2:3]
	v_mul_f64 v[2:3], v[2:3], s[2:3]
	v_add_co_u32 v4, vcc_lo, v12, s4
	v_add_co_ci_u32_e32 v5, vcc_lo, s5, v13, vcc_lo
	v_add_co_u32 v6, vcc_lo, 0x2800, v16
	v_add_co_ci_u32_e32 v7, vcc_lo, 0, v17, vcc_lo
	v_add_co_u32 v12, vcc_lo, v4, s4
	v_add_co_ci_u32_e32 v13, vcc_lo, s5, v5, vcc_lo
	global_store_dwordx4 v[4:5], v[0:3], off
	global_load_dwordx4 v[0:3], v[6:7], off offset:896
	v_add_co_u32 v4, vcc_lo, 0x3000, v16
	v_add_co_ci_u32_e32 v5, vcc_lo, 0, v17, vcc_lo
	s_waitcnt vmcnt(0) lgkmcnt(0)
	v_mul_f64 v[6:7], v[10:11], v[2:3]
	v_mul_f64 v[2:3], v[8:9], v[2:3]
	v_fma_f64 v[6:7], v[8:9], v[0:1], v[6:7]
	v_fma_f64 v[2:3], v[0:1], v[10:11], -v[2:3]
	v_mul_f64 v[0:1], v[6:7], s[2:3]
	v_mul_f64 v[2:3], v[2:3], s[2:3]
	global_store_dwordx4 v[12:13], v[0:3], off
	global_load_dwordx4 v[0:3], v[4:5], off offset:1920
	ds_read_b128 v[4:7], v26 offset:14208
	ds_read_b128 v[8:11], v26 offset:17280
	s_waitcnt vmcnt(0) lgkmcnt(1)
	v_mul_f64 v[14:15], v[6:7], v[2:3]
	v_mul_f64 v[2:3], v[4:5], v[2:3]
	v_fma_f64 v[4:5], v[4:5], v[0:1], v[14:15]
	v_fma_f64 v[2:3], v[0:1], v[6:7], -v[2:3]
	v_mul_f64 v[0:1], v[4:5], s[2:3]
	v_mul_f64 v[2:3], v[2:3], s[2:3]
	v_add_co_u32 v4, vcc_lo, v12, s4
	v_add_co_ci_u32_e32 v5, vcc_lo, s5, v13, vcc_lo
	v_add_co_u32 v6, vcc_lo, 0x4000, v16
	v_add_co_ci_u32_e32 v7, vcc_lo, 0, v17, vcc_lo
	v_add_co_u32 v12, vcc_lo, v4, s4
	v_add_co_ci_u32_e32 v13, vcc_lo, s5, v5, vcc_lo
	global_store_dwordx4 v[4:5], v[0:3], off
	global_load_dwordx4 v[0:3], v[6:7], off offset:896
	v_add_co_u32 v4, vcc_lo, 0x4800, v16
	v_add_co_ci_u32_e32 v5, vcc_lo, 0, v17, vcc_lo
	s_waitcnt vmcnt(0) lgkmcnt(0)
	v_mul_f64 v[6:7], v[10:11], v[2:3]
	v_mul_f64 v[2:3], v[8:9], v[2:3]
	v_fma_f64 v[6:7], v[8:9], v[0:1], v[6:7]
	v_fma_f64 v[2:3], v[0:1], v[10:11], -v[2:3]
	v_mul_f64 v[0:1], v[6:7], s[2:3]
	v_mul_f64 v[2:3], v[2:3], s[2:3]
	;; [unrolled: 28-line block ×3, first 2 shown]
	global_store_dwordx4 v[12:13], v[0:3], off
	global_load_dwordx4 v[0:3], v[4:5], off offset:1920
	ds_read_b128 v[4:7], v26 offset:26496
	ds_read_b128 v[8:11], v26 offset:29568
	s_waitcnt vmcnt(0) lgkmcnt(1)
	v_mul_f64 v[14:15], v[6:7], v[2:3]
	v_mul_f64 v[2:3], v[4:5], v[2:3]
	v_fma_f64 v[4:5], v[4:5], v[0:1], v[14:15]
	v_fma_f64 v[2:3], v[0:1], v[6:7], -v[2:3]
	v_mul_f64 v[0:1], v[4:5], s[2:3]
	v_mul_f64 v[2:3], v[2:3], s[2:3]
	v_add_co_u32 v4, vcc_lo, v12, s4
	v_add_co_ci_u32_e32 v5, vcc_lo, s5, v13, vcc_lo
	v_add_co_u32 v6, vcc_lo, 0x7000, v16
	v_add_co_ci_u32_e32 v7, vcc_lo, 0, v17, vcc_lo
	global_store_dwordx4 v[4:5], v[0:3], off
	global_load_dwordx4 v[0:3], v[6:7], off offset:896
	v_add_co_u32 v4, vcc_lo, v4, s4
	v_add_co_ci_u32_e32 v5, vcc_lo, s5, v5, vcc_lo
	s_waitcnt vmcnt(0) lgkmcnt(0)
	v_mul_f64 v[6:7], v[10:11], v[2:3]
	v_mul_f64 v[2:3], v[8:9], v[2:3]
	v_fma_f64 v[6:7], v[8:9], v[0:1], v[6:7]
	v_fma_f64 v[2:3], v[0:1], v[10:11], -v[2:3]
	v_mul_f64 v[0:1], v[6:7], s[2:3]
	v_mul_f64 v[2:3], v[2:3], s[2:3]
	global_store_dwordx4 v[4:5], v[0:3], off
.LBB0_23:
	s_endpgm
	.section	.rodata,"a",@progbits
	.p2align	6, 0x0
	.amdhsa_kernel bluestein_single_fwd_len1920_dim1_dp_op_CI_CI
		.amdhsa_group_segment_fixed_size 61440
		.amdhsa_private_segment_fixed_size 340
		.amdhsa_kernarg_size 104
		.amdhsa_user_sgpr_count 6
		.amdhsa_user_sgpr_private_segment_buffer 1
		.amdhsa_user_sgpr_dispatch_ptr 0
		.amdhsa_user_sgpr_queue_ptr 0
		.amdhsa_user_sgpr_kernarg_segment_ptr 1
		.amdhsa_user_sgpr_dispatch_id 0
		.amdhsa_user_sgpr_flat_scratch_init 0
		.amdhsa_user_sgpr_private_segment_size 0
		.amdhsa_wavefront_size32 1
		.amdhsa_uses_dynamic_stack 0
		.amdhsa_system_sgpr_private_segment_wavefront_offset 1
		.amdhsa_system_sgpr_workgroup_id_x 1
		.amdhsa_system_sgpr_workgroup_id_y 0
		.amdhsa_system_sgpr_workgroup_id_z 0
		.amdhsa_system_sgpr_workgroup_info 0
		.amdhsa_system_vgpr_workitem_id 0
		.amdhsa_next_free_vgpr 256
		.amdhsa_next_free_sgpr 28
		.amdhsa_reserve_vcc 1
		.amdhsa_reserve_flat_scratch 0
		.amdhsa_float_round_mode_32 0
		.amdhsa_float_round_mode_16_64 0
		.amdhsa_float_denorm_mode_32 3
		.amdhsa_float_denorm_mode_16_64 3
		.amdhsa_dx10_clamp 1
		.amdhsa_ieee_mode 1
		.amdhsa_fp16_overflow 0
		.amdhsa_workgroup_processor_mode 1
		.amdhsa_memory_ordered 1
		.amdhsa_forward_progress 0
		.amdhsa_shared_vgpr_count 0
		.amdhsa_exception_fp_ieee_invalid_op 0
		.amdhsa_exception_fp_denorm_src 0
		.amdhsa_exception_fp_ieee_div_zero 0
		.amdhsa_exception_fp_ieee_overflow 0
		.amdhsa_exception_fp_ieee_underflow 0
		.amdhsa_exception_fp_ieee_inexact 0
		.amdhsa_exception_int_div_zero 0
	.end_amdhsa_kernel
	.text
.Lfunc_end0:
	.size	bluestein_single_fwd_len1920_dim1_dp_op_CI_CI, .Lfunc_end0-bluestein_single_fwd_len1920_dim1_dp_op_CI_CI
                                        ; -- End function
	.section	.AMDGPU.csdata,"",@progbits
; Kernel info:
; codeLenInByte = 24276
; NumSgprs: 30
; NumVgprs: 256
; ScratchSize: 340
; MemoryBound: 0
; FloatMode: 240
; IeeeMode: 1
; LDSByteSize: 61440 bytes/workgroup (compile time only)
; SGPRBlocks: 3
; VGPRBlocks: 31
; NumSGPRsForWavesPerEU: 30
; NumVGPRsForWavesPerEU: 256
; Occupancy: 4
; WaveLimiterHint : 1
; COMPUTE_PGM_RSRC2:SCRATCH_EN: 1
; COMPUTE_PGM_RSRC2:USER_SGPR: 6
; COMPUTE_PGM_RSRC2:TRAP_HANDLER: 0
; COMPUTE_PGM_RSRC2:TGID_X_EN: 1
; COMPUTE_PGM_RSRC2:TGID_Y_EN: 0
; COMPUTE_PGM_RSRC2:TGID_Z_EN: 0
; COMPUTE_PGM_RSRC2:TIDIG_COMP_CNT: 0
	.text
	.p2alignl 6, 3214868480
	.fill 48, 4, 3214868480
	.type	__hip_cuid_137045ee5eae751,@object ; @__hip_cuid_137045ee5eae751
	.section	.bss,"aw",@nobits
	.globl	__hip_cuid_137045ee5eae751
__hip_cuid_137045ee5eae751:
	.byte	0                               ; 0x0
	.size	__hip_cuid_137045ee5eae751, 1

	.ident	"AMD clang version 19.0.0git (https://github.com/RadeonOpenCompute/llvm-project roc-6.4.0 25133 c7fe45cf4b819c5991fe208aaa96edf142730f1d)"
	.section	".note.GNU-stack","",@progbits
	.addrsig
	.addrsig_sym __hip_cuid_137045ee5eae751
	.amdgpu_metadata
---
amdhsa.kernels:
  - .args:
      - .actual_access:  read_only
        .address_space:  global
        .offset:         0
        .size:           8
        .value_kind:     global_buffer
      - .actual_access:  read_only
        .address_space:  global
        .offset:         8
        .size:           8
        .value_kind:     global_buffer
      - .actual_access:  read_only
        .address_space:  global
        .offset:         16
        .size:           8
        .value_kind:     global_buffer
      - .actual_access:  read_only
        .address_space:  global
        .offset:         24
        .size:           8
        .value_kind:     global_buffer
      - .actual_access:  read_only
        .address_space:  global
        .offset:         32
        .size:           8
        .value_kind:     global_buffer
      - .offset:         40
        .size:           8
        .value_kind:     by_value
      - .address_space:  global
        .offset:         48
        .size:           8
        .value_kind:     global_buffer
      - .address_space:  global
        .offset:         56
        .size:           8
        .value_kind:     global_buffer
      - .address_space:  global
        .offset:         64
        .size:           8
        .value_kind:     global_buffer
      - .address_space:  global
        .offset:         72
        .size:           8
        .value_kind:     global_buffer
      - .offset:         80
        .size:           4
        .value_kind:     by_value
      - .address_space:  global
        .offset:         88
        .size:           8
        .value_kind:     global_buffer
      - .address_space:  global
        .offset:         96
        .size:           8
        .value_kind:     global_buffer
    .group_segment_fixed_size: 61440
    .kernarg_segment_align: 8
    .kernarg_segment_size: 104
    .language:       OpenCL C
    .language_version:
      - 2
      - 0
    .max_flat_workgroup_size: 240
    .name:           bluestein_single_fwd_len1920_dim1_dp_op_CI_CI
    .private_segment_fixed_size: 340
    .sgpr_count:     30
    .sgpr_spill_count: 0
    .symbol:         bluestein_single_fwd_len1920_dim1_dp_op_CI_CI.kd
    .uniform_work_group_size: 1
    .uses_dynamic_stack: false
    .vgpr_count:     256
    .vgpr_spill_count: 84
    .wavefront_size: 32
    .workgroup_processor_mode: 1
amdhsa.target:   amdgcn-amd-amdhsa--gfx1030
amdhsa.version:
  - 1
  - 2
...

	.end_amdgpu_metadata
